;; amdgpu-corpus repo=ROCm/rocFFT kind=compiled arch=gfx906 opt=O3
	.text
	.amdgcn_target "amdgcn-amd-amdhsa--gfx906"
	.amdhsa_code_object_version 6
	.protected	fft_rtc_back_len2002_factors_2_13_7_11_wgs_182_tpt_182_halfLds_half_op_CI_CI_unitstride_sbrr_R2C_dirReg ; -- Begin function fft_rtc_back_len2002_factors_2_13_7_11_wgs_182_tpt_182_halfLds_half_op_CI_CI_unitstride_sbrr_R2C_dirReg
	.globl	fft_rtc_back_len2002_factors_2_13_7_11_wgs_182_tpt_182_halfLds_half_op_CI_CI_unitstride_sbrr_R2C_dirReg
	.p2align	8
	.type	fft_rtc_back_len2002_factors_2_13_7_11_wgs_182_tpt_182_halfLds_half_op_CI_CI_unitstride_sbrr_R2C_dirReg,@function
fft_rtc_back_len2002_factors_2_13_7_11_wgs_182_tpt_182_halfLds_half_op_CI_CI_unitstride_sbrr_R2C_dirReg: ; @fft_rtc_back_len2002_factors_2_13_7_11_wgs_182_tpt_182_halfLds_half_op_CI_CI_unitstride_sbrr_R2C_dirReg
; %bb.0:
	s_load_dwordx4 s[8:11], s[4:5], 0x58
	s_load_dwordx4 s[12:15], s[4:5], 0x0
	;; [unrolled: 1-line block ×3, first 2 shown]
	v_mul_u32_u24_e32 v1, 0x169, v0
	v_mov_b32_e32 v5, 0
	v_mov_b32_e32 v13, 0
	s_waitcnt lgkmcnt(0)
	v_cmp_lt_u64_e64 s[0:1], s[14:15], 2
	v_add_u32_sdwa v7, s6, v1 dst_sel:DWORD dst_unused:UNUSED_PAD src0_sel:DWORD src1_sel:WORD_1
	v_mov_b32_e32 v8, v5
	s_and_b64 vcc, exec, s[0:1]
	v_mov_b32_e32 v14, 0
	s_cbranch_vccnz .LBB0_8
; %bb.1:
	s_load_dwordx2 s[0:1], s[4:5], 0x10
	s_add_u32 s2, s18, 8
	s_addc_u32 s3, s19, 0
	s_add_u32 s6, s16, 8
	s_addc_u32 s7, s17, 0
	v_mov_b32_e32 v13, 0
	s_waitcnt lgkmcnt(0)
	s_add_u32 s20, s0, 8
	v_mov_b32_e32 v14, 0
	v_mov_b32_e32 v1, v13
	s_addc_u32 s21, s1, 0
	s_mov_b64 s[22:23], 1
	v_mov_b32_e32 v2, v14
.LBB0_2:                                ; =>This Inner Loop Header: Depth=1
	s_load_dwordx2 s[24:25], s[20:21], 0x0
                                        ; implicit-def: $vgpr3_vgpr4
	s_waitcnt lgkmcnt(0)
	v_or_b32_e32 v6, s25, v8
	v_cmp_ne_u64_e32 vcc, 0, v[5:6]
	s_and_saveexec_b64 s[0:1], vcc
	s_xor_b64 s[26:27], exec, s[0:1]
	s_cbranch_execz .LBB0_4
; %bb.3:                                ;   in Loop: Header=BB0_2 Depth=1
	v_cvt_f32_u32_e32 v3, s24
	v_cvt_f32_u32_e32 v4, s25
	s_sub_u32 s0, 0, s24
	s_subb_u32 s1, 0, s25
	v_mac_f32_e32 v3, 0x4f800000, v4
	v_rcp_f32_e32 v3, v3
	v_mul_f32_e32 v3, 0x5f7ffffc, v3
	v_mul_f32_e32 v4, 0x2f800000, v3
	v_trunc_f32_e32 v4, v4
	v_mac_f32_e32 v3, 0xcf800000, v4
	v_cvt_u32_f32_e32 v4, v4
	v_cvt_u32_f32_e32 v3, v3
	v_mul_lo_u32 v6, s0, v4
	v_mul_hi_u32 v9, s0, v3
	v_mul_lo_u32 v11, s1, v3
	v_mul_lo_u32 v10, s0, v3
	v_add_u32_e32 v6, v9, v6
	v_add_u32_e32 v6, v6, v11
	v_mul_hi_u32 v9, v3, v10
	v_mul_lo_u32 v11, v3, v6
	v_mul_hi_u32 v15, v3, v6
	v_mul_hi_u32 v12, v4, v10
	v_mul_lo_u32 v10, v4, v10
	v_mul_hi_u32 v16, v4, v6
	v_add_co_u32_e32 v9, vcc, v9, v11
	v_addc_co_u32_e32 v11, vcc, 0, v15, vcc
	v_mul_lo_u32 v6, v4, v6
	v_add_co_u32_e32 v9, vcc, v9, v10
	v_addc_co_u32_e32 v9, vcc, v11, v12, vcc
	v_addc_co_u32_e32 v10, vcc, 0, v16, vcc
	v_add_co_u32_e32 v6, vcc, v9, v6
	v_addc_co_u32_e32 v9, vcc, 0, v10, vcc
	v_add_co_u32_e32 v3, vcc, v3, v6
	v_addc_co_u32_e32 v4, vcc, v4, v9, vcc
	v_mul_lo_u32 v6, s0, v4
	v_mul_hi_u32 v9, s0, v3
	v_mul_lo_u32 v10, s1, v3
	v_mul_lo_u32 v11, s0, v3
	v_add_u32_e32 v6, v9, v6
	v_add_u32_e32 v6, v6, v10
	v_mul_lo_u32 v12, v3, v6
	v_mul_hi_u32 v15, v3, v11
	v_mul_hi_u32 v16, v3, v6
	v_mul_hi_u32 v10, v4, v11
	v_mul_lo_u32 v11, v4, v11
	v_mul_hi_u32 v9, v4, v6
	v_add_co_u32_e32 v12, vcc, v15, v12
	v_addc_co_u32_e32 v15, vcc, 0, v16, vcc
	v_mul_lo_u32 v6, v4, v6
	v_add_co_u32_e32 v11, vcc, v12, v11
	v_addc_co_u32_e32 v10, vcc, v15, v10, vcc
	v_addc_co_u32_e32 v9, vcc, 0, v9, vcc
	v_add_co_u32_e32 v6, vcc, v10, v6
	v_addc_co_u32_e32 v9, vcc, 0, v9, vcc
	v_add_co_u32_e32 v6, vcc, v3, v6
	v_addc_co_u32_e32 v9, vcc, v4, v9, vcc
	v_mad_u64_u32 v[3:4], s[0:1], v7, v9, 0
	v_mul_hi_u32 v10, v7, v6
	v_add_co_u32_e32 v11, vcc, v10, v3
	v_addc_co_u32_e32 v12, vcc, 0, v4, vcc
	v_mad_u64_u32 v[3:4], s[0:1], v8, v6, 0
	v_mad_u64_u32 v[9:10], s[0:1], v8, v9, 0
	v_add_co_u32_e32 v3, vcc, v11, v3
	v_addc_co_u32_e32 v3, vcc, v12, v4, vcc
	v_addc_co_u32_e32 v4, vcc, 0, v10, vcc
	v_add_co_u32_e32 v6, vcc, v3, v9
	v_addc_co_u32_e32 v9, vcc, 0, v4, vcc
	v_mul_lo_u32 v10, s25, v6
	v_mul_lo_u32 v11, s24, v9
	v_mad_u64_u32 v[3:4], s[0:1], s24, v6, 0
	v_add3_u32 v4, v4, v11, v10
	v_sub_u32_e32 v10, v8, v4
	v_mov_b32_e32 v11, s25
	v_sub_co_u32_e32 v3, vcc, v7, v3
	v_subb_co_u32_e64 v10, s[0:1], v10, v11, vcc
	v_subrev_co_u32_e64 v11, s[0:1], s24, v3
	v_subbrev_co_u32_e64 v10, s[0:1], 0, v10, s[0:1]
	v_cmp_le_u32_e64 s[0:1], s25, v10
	v_cndmask_b32_e64 v12, 0, -1, s[0:1]
	v_cmp_le_u32_e64 s[0:1], s24, v11
	v_cndmask_b32_e64 v11, 0, -1, s[0:1]
	v_cmp_eq_u32_e64 s[0:1], s25, v10
	v_cndmask_b32_e64 v10, v12, v11, s[0:1]
	v_add_co_u32_e64 v11, s[0:1], 2, v6
	v_addc_co_u32_e64 v12, s[0:1], 0, v9, s[0:1]
	v_add_co_u32_e64 v15, s[0:1], 1, v6
	v_addc_co_u32_e64 v16, s[0:1], 0, v9, s[0:1]
	v_subb_co_u32_e32 v4, vcc, v8, v4, vcc
	v_cmp_ne_u32_e64 s[0:1], 0, v10
	v_cmp_le_u32_e32 vcc, s25, v4
	v_cndmask_b32_e64 v10, v16, v12, s[0:1]
	v_cndmask_b32_e64 v12, 0, -1, vcc
	v_cmp_le_u32_e32 vcc, s24, v3
	v_cndmask_b32_e64 v3, 0, -1, vcc
	v_cmp_eq_u32_e32 vcc, s25, v4
	v_cndmask_b32_e32 v3, v12, v3, vcc
	v_cmp_ne_u32_e32 vcc, 0, v3
	v_cndmask_b32_e64 v3, v15, v11, s[0:1]
	v_cndmask_b32_e32 v4, v9, v10, vcc
	v_cndmask_b32_e32 v3, v6, v3, vcc
.LBB0_4:                                ;   in Loop: Header=BB0_2 Depth=1
	s_andn2_saveexec_b64 s[0:1], s[26:27]
	s_cbranch_execz .LBB0_6
; %bb.5:                                ;   in Loop: Header=BB0_2 Depth=1
	v_cvt_f32_u32_e32 v3, s24
	s_sub_i32 s26, 0, s24
	v_rcp_iflag_f32_e32 v3, v3
	v_mul_f32_e32 v3, 0x4f7ffffe, v3
	v_cvt_u32_f32_e32 v3, v3
	v_mul_lo_u32 v4, s26, v3
	v_mul_hi_u32 v4, v3, v4
	v_add_u32_e32 v3, v3, v4
	v_mul_hi_u32 v3, v7, v3
	v_mul_lo_u32 v4, v3, s24
	v_add_u32_e32 v6, 1, v3
	v_sub_u32_e32 v4, v7, v4
	v_subrev_u32_e32 v9, s24, v4
	v_cmp_le_u32_e32 vcc, s24, v4
	v_cndmask_b32_e32 v4, v4, v9, vcc
	v_cndmask_b32_e32 v3, v3, v6, vcc
	v_add_u32_e32 v6, 1, v3
	v_cmp_le_u32_e32 vcc, s24, v4
	v_cndmask_b32_e32 v3, v3, v6, vcc
	v_mov_b32_e32 v4, v5
.LBB0_6:                                ;   in Loop: Header=BB0_2 Depth=1
	s_or_b64 exec, exec, s[0:1]
	v_mul_lo_u32 v6, v4, s24
	v_mul_lo_u32 v11, v3, s25
	v_mad_u64_u32 v[9:10], s[0:1], v3, s24, 0
	s_load_dwordx2 s[0:1], s[6:7], 0x0
	s_load_dwordx2 s[24:25], s[2:3], 0x0
	v_add3_u32 v6, v10, v11, v6
	v_sub_co_u32_e32 v7, vcc, v7, v9
	v_subb_co_u32_e32 v6, vcc, v8, v6, vcc
	s_waitcnt lgkmcnt(0)
	v_mul_lo_u32 v8, s0, v6
	v_mul_lo_u32 v9, s1, v7
	v_mad_u64_u32 v[13:14], s[0:1], s0, v7, v[13:14]
	v_mul_lo_u32 v6, s24, v6
	v_mul_lo_u32 v10, s25, v7
	v_mad_u64_u32 v[1:2], s[0:1], s24, v7, v[1:2]
	s_add_u32 s22, s22, 1
	s_addc_u32 s23, s23, 0
	s_add_u32 s2, s2, 8
	v_add3_u32 v2, v10, v2, v6
	s_addc_u32 s3, s3, 0
	v_mov_b32_e32 v6, s14
	s_add_u32 s6, s6, 8
	v_mov_b32_e32 v7, s15
	s_addc_u32 s7, s7, 0
	v_cmp_ge_u64_e32 vcc, s[22:23], v[6:7]
	s_add_u32 s20, s20, 8
	v_add3_u32 v14, v9, v14, v8
	s_addc_u32 s21, s21, 0
	s_cbranch_vccnz .LBB0_9
; %bb.7:                                ;   in Loop: Header=BB0_2 Depth=1
	v_mov_b32_e32 v8, v4
	v_mov_b32_e32 v7, v3
	s_branch .LBB0_2
.LBB0_8:
	v_mov_b32_e32 v1, v13
	v_mov_b32_e32 v3, v7
	;; [unrolled: 1-line block ×4, first 2 shown]
.LBB0_9:
	s_load_dwordx2 s[4:5], s[4:5], 0x28
	s_lshl_b64 s[6:7], s[14:15], 3
	s_add_u32 s2, s18, s6
	s_addc_u32 s3, s19, s7
                                        ; implicit-def: $vgpr5
                                        ; implicit-def: $vgpr7
                                        ; implicit-def: $vgpr12
                                        ; implicit-def: $vgpr11
                                        ; implicit-def: $vgpr10
                                        ; implicit-def: $vgpr9
	s_waitcnt lgkmcnt(0)
	v_cmp_gt_u64_e64 s[0:1], s[4:5], v[3:4]
	v_cmp_le_u64_e32 vcc, s[4:5], v[3:4]
	s_and_saveexec_b64 s[4:5], vcc
	s_xor_b64 s[4:5], exec, s[4:5]
; %bb.10:
	s_mov_b32 s14, 0x1681682
	v_mul_hi_u32 v5, v0, s14
                                        ; implicit-def: $vgpr13_vgpr14
	v_mul_u32_u24_e32 v5, 0xb6, v5
	v_sub_u32_e32 v5, v0, v5
	v_add_u32_e32 v7, 0xb6, v5
	v_add_u32_e32 v12, 0x16c, v5
	;; [unrolled: 1-line block ×5, first 2 shown]
                                        ; implicit-def: $vgpr0
; %bb.11:
	s_andn2_saveexec_b64 s[4:5], s[4:5]
	s_cbranch_execz .LBB0_13
; %bb.12:
	s_add_u32 s6, s16, s6
	s_addc_u32 s7, s17, s7
	s_load_dwordx2 s[6:7], s[6:7], 0x0
	s_mov_b32 s14, 0x1681682
	v_mul_hi_u32 v5, v0, s14
	s_waitcnt lgkmcnt(0)
	v_mul_lo_u32 v8, s7, v3
	v_mul_lo_u32 v9, s6, v4
	v_mad_u64_u32 v[6:7], s[6:7], s6, v3, 0
	v_mul_u32_u24_e32 v5, 0xb6, v5
	v_sub_u32_e32 v5, v0, v5
	v_add3_u32 v7, v7, v9, v8
	v_lshlrev_b64 v[6:7], 2, v[6:7]
	v_mov_b32_e32 v0, s9
	v_add_co_u32_e32 v8, vcc, s8, v6
	v_addc_co_u32_e32 v0, vcc, v0, v7, vcc
	v_lshlrev_b64 v[6:7], 2, v[13:14]
	v_lshlrev_b32_e32 v13, 2, v5
	v_add_co_u32_e32 v6, vcc, v8, v6
	v_addc_co_u32_e32 v0, vcc, v0, v7, vcc
	v_add_co_u32_e32 v6, vcc, v6, v13
	v_addc_co_u32_e32 v7, vcc, 0, v0, vcc
	;; [unrolled: 2-line block ×3, first 2 shown]
	global_load_dword v0, v[6:7], off offset:2184
	global_load_dword v14, v[6:7], off offset:2912
	;; [unrolled: 1-line block ×6, first 2 shown]
	global_load_dword v19, v[6:7], off
	global_load_dword v20, v[6:7], off offset:728
	global_load_dword v21, v[8:9], off offset:1728
	;; [unrolled: 1-line block ×4, first 2 shown]
	v_add_u32_e32 v6, 0, v13
	v_add_u32_e32 v7, 0xb6, v5
	;; [unrolled: 1-line block ×10, first 2 shown]
	s_waitcnt vmcnt(5)
	ds_write2_b32 v8, v18, v0 offset0:44 offset1:226
	ds_write2_b32 v13, v14, v15 offset0:24 offset1:206
	;; [unrolled: 1-line block ×3, first 2 shown]
	s_waitcnt vmcnt(3)
	ds_write2_b32 v6, v19, v20 offset1:182
	s_waitcnt vmcnt(1)
	ds_write2_b32 v25, v21, v22 offset0:48 offset1:230
	s_waitcnt vmcnt(0)
	ds_write_b32 v6, v23 offset:7280
.LBB0_13:
	s_or_b64 exec, exec, s[4:5]
	v_lshlrev_b32_e32 v6, 2, v5
	v_add_u32_e32 v0, 0, v6
	v_add_u32_e32 v8, 0xb00, v0
	s_load_dwordx2 s[4:5], s[2:3], 0x0
	s_waitcnt lgkmcnt(0)
	s_barrier
	ds_read2_b32 v[13:14], v8 offset0:24 offset1:206
	v_add_u32_e32 v8, 0x1a00, v0
	ds_read2_b32 v[16:17], v8 offset0:65 offset1:247
	v_add_u32_e32 v8, 0x500, v0
	s_movk_i32 s2, 0x5b
	v_cmp_gt_u32_e32 vcc, s2, v5
	s_waitcnt lgkmcnt(0)
	v_pk_add_f16 v24, v14, v17 neg_lo:[0,1] neg_hi:[0,1]
	ds_read2_b32 v[17:18], v8 offset0:44 offset1:226
	v_add_u32_e32 v8, 0x1500, v0
	v_pk_add_f16 v16, v13, v16 neg_lo:[0,1] neg_hi:[0,1]
	ds_read2_b32 v[19:20], v8 offset0:21 offset1:203
	v_add_u32_e32 v8, 0xf00, v0
	v_pk_fma_f16 v15, v13, 2.0, v16 op_sel_hi:[1,0,1] neg_lo:[0,0,1] neg_hi:[0,0,1]
	v_pk_fma_f16 v23, v14, 2.0, v24 op_sel_hi:[1,0,1] neg_lo:[0,0,1] neg_hi:[0,0,1]
	ds_read2_b32 v[13:14], v8 offset0:41 offset1:223
	ds_read2_b32 v[25:26], v0 offset1:182
	s_waitcnt lgkmcnt(2)
	v_pk_add_f16 v22, v18, v20 neg_lo:[0,1] neg_hi:[0,1]
	v_pk_fma_f16 v21, v18, 2.0, v22 op_sel_hi:[1,0,1] neg_lo:[0,0,1] neg_hi:[0,0,1]
	v_pk_add_f16 v18, v17, v19 neg_lo:[0,1] neg_hi:[0,1]
	s_waitcnt lgkmcnt(0)
	v_pk_add_f16 v20, v26, v14 neg_lo:[0,1] neg_hi:[0,1]
	v_pk_add_f16 v14, v25, v13 neg_lo:[0,1] neg_hi:[0,1]
	v_lshrrev_b32_e32 v8, 16, v25
	v_fma_f16 v13, v25, 2.0, -v14
	v_lshrrev_b32_e32 v25, 16, v14
	v_fma_f16 v8, v8, 2.0, -v25
	v_lshlrev_b32_e32 v8, 16, v8
	v_or_b32_sdwa v13, v8, v13 dst_sel:DWORD dst_unused:UNUSED_PAD src0_sel:DWORD src1_sel:WORD_0
	v_add_u32_e32 v8, v0, v6
	v_pk_fma_f16 v19, v26, 2.0, v20 op_sel_hi:[1,0,1] neg_lo:[0,0,1] neg_hi:[0,0,1]
	s_barrier
	ds_write2_b32 v8, v13, v14 offset1:1
	v_lshl_add_u32 v8, v7, 3, 0
	v_pk_fma_f16 v17, v17, 2.0, v18 op_sel_hi:[1,0,1] neg_lo:[0,0,1] neg_hi:[0,0,1]
	ds_write2_b32 v8, v19, v20 offset1:1
	v_lshl_add_u32 v8, v12, 3, 0
	ds_write2_b32 v8, v17, v18 offset1:1
	v_lshl_add_u32 v8, v11, 3, 0
	;; [unrolled: 2-line block ×3, first 2 shown]
	ds_write2_b32 v8, v15, v16 offset1:1
	s_and_saveexec_b64 s[2:3], vcc
	s_cbranch_execz .LBB0_15
; %bb.14:
	v_lshl_add_u32 v8, v9, 3, 0
	ds_write2_b32 v8, v23, v24 offset1:1
.LBB0_15:
	s_or_b64 exec, exec, s[2:3]
	s_movk_i32 s2, 0x9a
	v_cmp_gt_u32_e64 s[2:3], s2, v5
	v_lshrrev_b32_e32 v38, 16, v21
	v_lshrrev_b32_e32 v40, 16, v22
	;; [unrolled: 1-line block ×6, first 2 shown]
	s_waitcnt lgkmcnt(0)
	s_barrier
	s_waitcnt lgkmcnt(0)
                                        ; implicit-def: $vgpr30
                                        ; implicit-def: $vgpr29
	s_and_saveexec_b64 s[6:7], s[2:3]
	s_cbranch_execz .LBB0_17
; %bb.16:
	v_add_u32_e32 v8, 0x400, v0
	ds_read2_b32 v[19:20], v8 offset0:52 offset1:206
	v_add_u32_e32 v8, 0x900, v0
	ds_read2_b32 v[17:18], v8 offset0:40 offset1:194
	v_add_u32_e32 v8, 0xe00, v0
	ds_read2_b32 v[13:14], v0 offset1:154
	ds_read2_b32 v[21:22], v8 offset0:28 offset1:182
	ds_read_b32 v29, v0 offset:7392
	v_add_u32_e32 v8, 0x1200, v0
	ds_read2_b32 v[15:16], v8 offset0:80 offset1:234
	v_add_u32_e32 v8, 0x1800, v0
	ds_read2_b32 v[23:24], v8 offset0:4 offset1:158
	s_waitcnt lgkmcnt(2)
	v_lshrrev_b32_e32 v30, 16, v29
	v_lshrrev_b32_e32 v25, 16, v14
	;; [unrolled: 1-line block ×8, first 2 shown]
.LBB0_17:
	s_or_b64 exec, exec, s[6:7]
	v_and_b32_e32 v8, 1, v5
	v_mul_u32_u24_e32 v27, 12, v8
	v_lshlrev_b32_e32 v27, 2, v27
	global_load_dwordx4 v[33:36], v27, s[12:13] offset:32
	global_load_dwordx4 v[41:44], v27, s[12:13] offset:16
	global_load_dwordx4 v[50:53], v27, s[12:13]
	s_waitcnt lgkmcnt(0)
	v_lshrrev_b32_e32 v32, 16, v24
	v_lshrrev_b32_e32 v31, 16, v23
	;; [unrolled: 1-line block ×4, first 2 shown]
	s_movk_i32 s7, 0x3b15
	s_mov_b32 s14, 0xb770
	s_movk_i32 s6, 0x388b
	s_mov_b32 s9, 0xba95
	s_mov_b32 s8, 0xb5ac
	;; [unrolled: 1-line block ×7, first 2 shown]
	s_movk_i32 s22, 0x394e
	s_mov_b32 s20, 0xb94e
	s_movk_i32 s23, 0x3770
	s_movk_i32 s18, 0x3bf1
	;; [unrolled: 1-line block ×3, first 2 shown]
	s_waitcnt vmcnt(0)
	s_barrier
	v_mul_f16_sdwa v28, v32, v35 dst_sel:DWORD dst_unused:UNUSED_PAD src0_sel:DWORD src1_sel:WORD_1
	v_mul_f16_sdwa v49, v24, v35 dst_sel:DWORD dst_unused:UNUSED_PAD src0_sel:DWORD src1_sel:WORD_1
	;; [unrolled: 1-line block ×18, first 2 shown]
	v_fma_f16 v28, v24, v35, v28
	v_fma_f16 v35, v32, v35, -v49
	v_fma_f16 v29, v29, v36, v54
	v_fma_f16 v36, v30, v36, -v55
	v_fma_f16 v49, v25, v50, -v72
	v_mul_f16_sdwa v66, v46, v51 dst_sel:DWORD dst_unused:UNUSED_PAD src0_sel:DWORD src1_sel:WORD_1
	v_mul_f16_sdwa v71, v17, v53 dst_sel:DWORD dst_unused:UNUSED_PAD src0_sel:DWORD src1_sel:WORD_1
	v_fma_f16 v27, v23, v34, v27
	v_fma_f16 v34, v31, v34, -v48
	v_fma_f16 v37, v37, v33, -v56
	v_fma_f16 v30, v16, v33, v57
	v_fma_f16 v31, v21, v42, v58
	v_fma_f16 v33, v15, v44, v62
	v_fma_f16 v42, v38, v42, -v60
	v_fma_f16 v44, v45, v44, -v63
	;; [unrolled: 1-line block ×3, first 2 shown]
	v_fma_f16 v38, v18, v41, v65
	v_fma_f16 v41, v17, v53, v70
	v_fma_f16 v46, v46, v51, -v68
	v_fma_f16 v14, v14, v50, v73
	v_sub_f16_e32 v15, v49, v36
	v_add_f16_e32 v17, v49, v36
	v_mul_f16_sdwa v59, v40, v43 dst_sel:DWORD dst_unused:UNUSED_PAD src0_sel:DWORD src1_sel:WORD_1
	v_mul_f16_sdwa v61, v22, v43 dst_sel:DWORD dst_unused:UNUSED_PAD src0_sel:DWORD src1_sel:WORD_1
	;; [unrolled: 1-line block ×4, first 2 shown]
	v_fma_f16 v39, v19, v51, v66
	v_fma_f16 v48, v26, v53, -v71
	v_add_f16_e32 v81, v14, v29
	v_sub_f16_e32 v16, v46, v35
	v_sub_f16_e32 v82, v14, v29
	v_add_f16_e32 v18, v46, v35
	v_mul_f16_e32 v51, 0xb770, v15
	v_mul_f16_e32 v53, 0x3b15, v17
	v_fma_f16 v32, v22, v43, v59
	v_fma_f16 v43, v40, v43, -v61
	v_fma_f16 v40, v20, v52, v67
	v_fma_f16 v47, v47, v52, -v69
	v_add_f16_e32 v77, v39, v28
	v_sub_f16_e32 v79, v39, v28
	v_mul_f16_e32 v50, 0xba95, v16
	v_mul_f16_e32 v52, 0x388b, v18
	;; [unrolled: 1-line block ×3, first 2 shown]
	v_fma_f16 v19, v81, s7, -v51
	v_fma_f16 v21, v82, s14, v53
	v_mul_f16_e32 v55, 0xbb7b, v16
	v_mul_f16_e32 v56, 0x388b, v17
	v_fma_f16 v20, v77, s6, -v50
	v_fma_f16 v22, v79, s9, v52
	v_fma_f16 v23, v81, s6, -v54
	v_add_f16_e32 v19, v19, v13
	v_add_f16_sdwa v21, v21, v13 dst_sel:DWORD dst_unused:UNUSED_PAD src0_sel:DWORD src1_sel:WORD_1
	v_fma_f16 v24, v77, s8, -v55
	v_add_f16_e32 v23, v23, v13
	v_add_f16_e32 v19, v20, v19
	;; [unrolled: 1-line block ×3, first 2 shown]
	v_fma_f16 v22, v82, s9, v56
	v_mul_f16_e32 v57, 0xb5ac, v18
	v_add_f16_e32 v21, v24, v23
	v_add_f16_sdwa v22, v22, v13 dst_sel:DWORD dst_unused:UNUSED_PAD src0_sel:DWORD src1_sel:WORD_1
	v_fma_f16 v23, v79, s15, v57
	s_movk_i32 s14, 0x2fb7
	v_mul_f16_e32 v58, 0xbbf1, v15
	v_add_f16_e32 v22, v23, v22
	v_fma_f16 v23, v81, s14, -v58
	v_mul_f16_e32 v59, 0xb3a8, v16
	v_add_f16_e32 v23, v23, v13
	v_fma_f16 v24, v77, s17, -v59
	v_mul_f16_e32 v61, 0x2fb7, v17
	v_add_f16_e32 v23, v24, v23
	v_fma_f16 v24, v82, s21, v61
	v_mul_f16_e32 v62, 0xbbc4, v18
	v_add_f16_sdwa v24, v24, v13 dst_sel:DWORD dst_unused:UNUSED_PAD src0_sel:DWORD src1_sel:WORD_1
	v_fma_f16 v25, v79, s19, v62
	v_mul_f16_e32 v64, 0xbb7b, v15
	v_add_f16_e32 v24, v25, v24
	v_fma_f16 v25, v81, s8, -v64
	v_mul_f16_e32 v65, 0x394e, v16
	v_add_f16_e32 v25, v25, v13
	v_fma_f16 v26, v77, s16, -v65
	v_mul_f16_e32 v67, 0xb5ac, v17
	v_add_f16_e32 v25, v26, v25
	v_fma_f16 v26, v82, s15, v67
	v_mul_f16_e32 v68, 0xb9fd, v18
	v_mul_f16_e32 v86, 0xb3a8, v15
	v_add_f16_sdwa v26, v26, v13 dst_sel:DWORD dst_unused:UNUSED_PAD src0_sel:DWORD src1_sel:WORD_1
	v_fma_f16 v60, v79, s22, v68
	v_mul_f16_e32 v71, 0xb94e, v15
	v_fma_f16 v15, v81, s17, -v86
	v_mul_f16_e32 v87, 0x3770, v16
	v_add_f16_e32 v26, v60, v26
	v_fma_f16 v60, v81, s16, -v71
	v_mul_f16_e32 v74, 0x3bf1, v16
	v_add_f16_e32 v15, v15, v13
	;; [unrolled: 3-line block ×4, first 2 shown]
	v_fma_f16 v16, v82, s19, v91
	v_mul_f16_e32 v92, 0x3b15, v18
	v_add_f16_e32 v69, v63, v60
	v_fma_f16 v60, v82, s20, v78
	v_mul_f16_e32 v80, 0x2fb7, v18
	v_add_f16_sdwa v16, v16, v13 dst_sel:DWORD dst_unused:UNUSED_PAD src0_sel:DWORD src1_sel:WORD_1
	v_fma_f16 v17, v79, s23, v92
	v_add_f16_sdwa v60, v60, v13 dst_sel:DWORD dst_unused:UNUSED_PAD src0_sel:DWORD src1_sel:WORD_1
	v_fma_f16 v63, v79, s18, v80
	v_add_f16_e32 v16, v17, v16
	v_sub_f16_e32 v17, v47, v34
	v_add_f16_e32 v73, v63, v60
	v_add_f16_e32 v104, v40, v27
	v_mul_f16_e32 v60, 0xbbf1, v17
	v_fma_f16 v18, v104, s14, -v60
	v_add_f16_e32 v18, v18, v19
	v_add_f16_e32 v19, v47, v34
	v_sub_f16_e32 v109, v40, v27
	v_mul_f16_e32 v63, 0x2fb7, v19
	v_fma_f16 v66, v109, s21, v63
	v_add_f16_e32 v20, v66, v20
	v_mul_f16_e32 v66, 0xb3a8, v17
	v_fma_f16 v70, v104, s17, -v66
	v_add_f16_e32 v21, v70, v21
	v_mul_f16_e32 v70, 0xbbc4, v19
	v_fma_f16 v72, v109, s19, v70
	v_add_f16_e32 v22, v72, v22
	v_mul_f16_e32 v72, 0x3b7b, v17
	v_fma_f16 v75, v104, s8, -v72
	v_mul_f16_e32 v76, 0xb5ac, v19
	v_add_f16_e32 v23, v75, v23
	v_fma_f16 v75, v109, s24, v76
	v_mul_f16_e32 v83, 0x3770, v17
	v_add_f16_e32 v24, v75, v24
	v_fma_f16 v75, v104, s7, -v83
	v_mul_f16_e32 v89, 0x3b15, v19
	v_mul_f16_e32 v100, 0xb94e, v17
	v_add_f16_e32 v25, v75, v25
	v_fma_f16 v75, v109, s23, v89
	v_mul_f16_e32 v93, 0xba95, v17
	v_fma_f16 v17, v104, s16, -v100
	v_mul_f16_e32 v105, 0xb9fd, v19
	v_add_f16_e32 v26, v75, v26
	v_fma_f16 v75, v104, s6, -v93
	v_mul_f16_e32 v97, 0x388b, v19
	v_add_f16_e32 v15, v17, v15
	v_fma_f16 v17, v109, s20, v105
	v_add_f16_e32 v85, v75, v69
	v_fma_f16 v69, v109, s9, v97
	v_add_f16_e32 v16, v17, v16
	v_sub_f16_e32 v17, v48, v37
	v_add_f16_e32 v90, v69, v73
	v_add_f16_e32 v115, v41, v30
	v_mul_f16_e32 v69, 0xbb7b, v17
	v_fma_f16 v19, v115, s8, -v69
	v_add_f16_e32 v18, v19, v18
	v_add_f16_e32 v19, v48, v37
	v_sub_f16_e32 v117, v41, v30
	v_mul_f16_e32 v73, 0xb5ac, v19
	v_fma_f16 v75, v117, s15, v73
	v_add_f16_e32 v20, v75, v20
	v_mul_f16_e32 v75, 0x394e, v17
	v_fma_f16 v84, v115, s16, -v75
	v_add_f16_e32 v21, v84, v21
	v_mul_f16_e32 v84, 0xb9fd, v19
	v_fma_f16 v88, v117, s22, v84
	v_add_f16_e32 v22, v88, v22
	v_mul_f16_e32 v88, 0x3770, v17
	v_fma_f16 v94, v115, s7, -v88
	v_add_f16_e32 v23, v94, v23
	v_mul_f16_e32 v94, 0x3b15, v19
	v_fma_f16 v95, v117, s23, v94
	v_mul_f16_e32 v96, 0xbbf1, v17
	v_add_f16_e32 v24, v95, v24
	v_fma_f16 v95, v115, s14, -v96
	v_mul_f16_e32 v101, 0x2fb7, v19
	v_mul_f16_e32 v113, 0x3a95, v17
	v_add_f16_e32 v25, v95, v25
	v_fma_f16 v95, v117, s21, v101
	v_mul_f16_e32 v106, 0x33a8, v17
	v_fma_f16 v17, v115, s6, -v113
	s_movk_i32 s22, 0x3a95
	v_mul_f16_e32 v120, 0x388b, v19
	v_add_f16_e32 v26, v95, v26
	v_fma_f16 v95, v115, s17, -v106
	s_movk_i32 s21, 0x33a8
	v_mul_f16_e32 v110, 0xbbc4, v19
	v_add_f16_e32 v15, v17, v15
	v_fma_f16 v17, v117, s22, v120
	v_add_f16_e32 v98, v95, v85
	v_fma_f16 v85, v117, s21, v110
	v_add_f16_e32 v16, v17, v16
	v_sub_f16_e32 v17, v45, v44
	v_add_f16_e32 v103, v85, v90
	v_add_f16_e32 v123, v38, v33
	v_mul_f16_e32 v85, 0xb94e, v17
	v_fma_f16 v19, v123, s16, -v85
	v_add_f16_e32 v18, v19, v18
	v_add_f16_e32 v19, v45, v44
	v_sub_f16_e32 v126, v38, v33
	v_mul_f16_e32 v90, 0xb9fd, v19
	v_fma_f16 v95, v126, s20, v90
	v_add_f16_e32 v20, v95, v20
	v_mul_f16_e32 v95, 0x3bf1, v17
	v_fma_f16 v99, v123, s14, -v95
	v_add_f16_e32 v21, v99, v21
	v_mul_f16_e32 v99, 0x2fb7, v19
	v_fma_f16 v102, v126, s18, v99
	v_add_f16_e32 v22, v102, v22
	v_mul_f16_e32 v102, 0xba95, v17
	v_fma_f16 v107, v123, s6, -v102
	v_mul_f16_e32 v108, 0x388b, v19
	v_add_f16_e32 v23, v107, v23
	v_fma_f16 v107, v126, s9, v108
	v_mul_f16_e32 v111, 0x33a8, v17
	v_add_f16_e32 v24, v107, v24
	v_fma_f16 v107, v123, s17, -v111
	v_mul_f16_e32 v116, 0xbbc4, v19
	v_add_f16_e32 v25, v107, v25
	v_fma_f16 v107, v126, s21, v116
	v_mul_f16_e32 v118, 0x3770, v17
	v_add_f16_e32 v26, v107, v26
	v_fma_f16 v107, v123, s7, -v118
	v_mul_f16_e32 v122, 0x3b15, v19
	v_mul_f16_e32 v124, 0xbb7b, v17
	v_add_f16_e32 v130, v107, v98
	v_fma_f16 v98, v126, s23, v122
	v_fma_f16 v17, v123, s8, -v124
	v_mul_f16_e32 v128, 0xb5ac, v19
	v_sub_f16_e32 v133, v42, v43
	v_add_f16_e32 v132, v98, v103
	v_add_f16_e32 v15, v17, v15
	v_fma_f16 v17, v126, s15, v128
	v_add_f16_e32 v129, v31, v32
	v_mul_f16_e32 v98, 0xb3a8, v133
	v_add_f16_e32 v134, v42, v43
	v_add_f16_e32 v16, v17, v16
	v_fma_f16 v17, v129, s17, -v98
	v_sub_f16_e32 v131, v31, v32
	v_mul_f16_e32 v103, 0xbbc4, v134
	v_add_f16_e32 v17, v17, v18
	v_fma_f16 v18, v131, s19, v103
	v_mul_f16_e32 v107, 0x3770, v133
	v_mul_f16_e32 v112, 0x3b15, v134
	v_add_f16_e32 v20, v18, v20
	v_fma_f16 v18, v129, s7, -v107
	v_fma_f16 v19, v131, s23, v112
	v_mul_f16_e32 v114, 0xb94e, v133
	v_add_f16_e32 v18, v18, v21
	v_add_f16_e32 v21, v19, v22
	v_fma_f16 v19, v129, s16, -v114
	v_mul_f16_e32 v119, 0xb9fd, v134
	v_mul_f16_e32 v121, 0x3a95, v133
	v_add_f16_e32 v19, v19, v23
	v_fma_f16 v22, v131, s20, v119
	v_fma_f16 v23, v129, s6, -v121
	v_mul_f16_e32 v127, 0xbb7b, v133
	v_add_f16_e32 v22, v22, v24
	v_add_f16_e32 v24, v23, v25
	v_mul_f16_e32 v125, 0x388b, v134
	v_fma_f16 v25, v129, s8, -v127
	v_fma_f16 v23, v131, s22, v125
	v_add_f16_e32 v25, v25, v130
	v_mul_f16_e32 v130, 0xb5ac, v134
	v_add_f16_e32 v23, v23, v26
	v_fma_f16 v26, v131, s15, v130
	v_add_f16_e32 v26, v26, v132
	v_mul_f16_e32 v132, 0x3bf1, v133
	v_fma_f16 v133, v129, s14, -v132
	v_add_f16_e32 v15, v133, v15
	v_mul_f16_e32 v133, 0x2fb7, v134
	v_fma_f16 v134, v131, s18, v133
	v_add_f16_e32 v16, v134, v16
	s_and_saveexec_b64 s[6:7], s[2:3]
	s_cbranch_execz .LBB0_19
; %bb.18:
	v_mul_f16_e32 v134, 0x3b15, v81
	v_mul_f16_e32 v135, 0xb770, v82
	;; [unrolled: 1-line block ×12, first 2 shown]
	v_sub_f16_e32 v82, v91, v82
	v_add_f16_e32 v81, v81, v86
	v_sub_f16_e32 v78, v78, v143
	v_add_f16_e32 v71, v142, v71
	;; [unrolled: 2-line block ×6, first 2 shown]
	v_add_f16_sdwa v82, v82, v13 dst_sel:DWORD dst_unused:UNUSED_PAD src0_sel:DWORD src1_sel:WORD_1
	v_add_f16_e32 v81, v81, v13
	v_add_f16_sdwa v78, v78, v13 dst_sel:DWORD dst_unused:UNUSED_PAD src0_sel:DWORD src1_sel:WORD_1
	v_add_f16_e32 v71, v71, v13
	;; [unrolled: 2-line block ×7, first 2 shown]
	v_add_f16_e32 v46, v49, v46
	v_add_f16_e32 v13, v13, v39
	;; [unrolled: 1-line block ×8, first 2 shown]
	v_mul_f16_e32 v144, 0x388b, v77
	v_mul_f16_e32 v145, 0xba95, v79
	v_add_f16_e32 v42, v45, v42
	v_add_f16_e32 v13, v13, v31
	v_mul_f16_e32 v146, 0xb5ac, v77
	v_mul_f16_e32 v147, 0xbb7b, v79
	;; [unrolled: 1-line block ×6, first 2 shown]
	v_sub_f16_e32 v52, v52, v145
	v_add_f16_e32 v50, v144, v50
	v_add_f16_e32 v42, v42, v43
	;; [unrolled: 1-line block ×3, first 2 shown]
	v_mul_f16_e32 v150, 0xb9fd, v77
	v_mul_f16_e32 v151, 0x394e, v79
	;; [unrolled: 1-line block ×10, first 2 shown]
	v_sub_f16_e32 v62, v62, v149
	v_add_f16_e32 v59, v148, v59
	v_sub_f16_e32 v57, v57, v147
	v_add_f16_e32 v55, v146, v55
	v_add_f16_e32 v52, v52, v53
	v_sub_f16_e32 v53, v63, v155
	v_add_f16_e32 v50, v50, v51
	v_add_f16_e32 v51, v154, v60
	;; [unrolled: 1-line block ×4, first 2 shown]
	v_mul_f16_e32 v77, 0x3b15, v77
	v_mul_f16_e32 v79, 0x3770, v79
	;; [unrolled: 1-line block ×12, first 2 shown]
	v_sub_f16_e32 v80, v80, v153
	v_add_f16_e32 v74, v152, v74
	v_sub_f16_e32 v68, v68, v151
	v_add_f16_e32 v65, v150, v65
	v_add_f16_e32 v61, v62, v61
	v_sub_f16_e32 v62, v76, v159
	v_add_f16_e32 v58, v59, v58
	v_add_f16_e32 v59, v158, v72
	v_add_f16_e32 v56, v57, v56
	v_sub_f16_e32 v57, v70, v157
	v_add_f16_e32 v54, v55, v54
	;; [unrolled: 4-line block ×3, first 2 shown]
	v_add_f16_e32 v51, v164, v69
	v_add_f16_e32 v37, v42, v37
	v_add_f16_e32 v13, v13, v30
	v_mul_f16_e32 v104, 0xb9fd, v104
	v_mul_f16_e32 v109, 0xb94e, v109
	;; [unrolled: 1-line block ×12, first 2 shown]
	v_sub_f16_e32 v79, v92, v79
	v_add_f16_e32 v77, v77, v87
	v_add_f16_e32 v78, v80, v78
	v_sub_f16_e32 v80, v97, v163
	v_add_f16_e32 v71, v74, v71
	v_add_f16_e32 v74, v162, v93
	v_add_f16_e32 v67, v68, v67
	v_sub_f16_e32 v68, v89, v161
	v_add_f16_e32 v64, v65, v64
	;; [unrolled: 4-line block ×5, first 2 shown]
	v_add_f16_e32 v51, v174, v85
	v_add_f16_e32 v34, v37, v34
	;; [unrolled: 1-line block ×3, first 2 shown]
	v_lshrrev_b32_e32 v14, 1, v5
	v_mul_f16_e32 v115, 0x388b, v115
	v_mul_f16_e32 v117, 0x3a95, v117
	v_mul_f16_e32 v180, 0xbbc4, v123
	v_mul_f16_e32 v181, 0x33a8, v126
	v_mul_f16_e32 v182, 0x3b15, v123
	v_mul_f16_e32 v183, 0x3770, v126
	v_mul_f16_e32 v186, 0x3b15, v129
	v_mul_f16_e32 v187, 0x3770, v131
	v_mul_f16_e32 v188, 0xb9fd, v129
	v_mul_f16_e32 v189, 0xb94e, v131
	v_add_f16_e32 v79, v79, v82
	v_sub_f16_e32 v82, v105, v109
	v_add_f16_e32 v77, v77, v81
	v_add_f16_e32 v81, v104, v100
	v_add_f16_e32 v78, v80, v78
	v_sub_f16_e32 v80, v110, v173
	v_add_f16_e32 v71, v74, v71
	v_add_f16_e32 v74, v172, v106
	;; [unrolled: 4-line block ×6, first 2 shown]
	v_add_f16_e32 v34, v34, v35
	v_add_f16_e32 v13, v13, v28
	v_mul_u32_u24_e32 v14, 26, v14
	v_mul_f16_e32 v123, 0xb5ac, v123
	v_mul_f16_e32 v126, 0xbb7b, v126
	;; [unrolled: 1-line block ×6, first 2 shown]
	v_add_f16_e32 v79, v82, v79
	v_sub_f16_e32 v82, v120, v117
	v_add_f16_e32 v77, v81, v77
	v_add_f16_e32 v81, v115, v113
	v_add_f16_e32 v78, v80, v78
	v_sub_f16_e32 v80, v122, v183
	v_add_f16_e32 v71, v74, v71
	v_add_f16_e32 v74, v182, v118
	;; [unrolled: 4-line block ×5, first 2 shown]
	v_add_f16_e32 v52, v53, v52
	v_add_f16_e32 v50, v51, v50
	v_add_f16_sdwa v34, v34, v36 dst_sel:WORD_1 dst_unused:UNUSED_PAD src0_sel:DWORD src1_sel:DWORD
	v_add_f16_e32 v13, v13, v29
	v_or_b32_e32 v8, v14, v8
	v_mul_f16_e32 v129, 0x2fb7, v129
	v_mul_f16_e32 v131, 0x3bf1, v131
	v_add_f16_e32 v79, v82, v79
	v_sub_f16_e32 v82, v128, v126
	v_add_f16_e32 v77, v81, v77
	v_add_f16_e32 v81, v123, v124
	v_add_f16_e32 v78, v80, v78
	v_sub_f16_e32 v80, v130, v193
	v_add_f16_e32 v71, v74, v71
	v_add_f16_e32 v74, v192, v127
	;; [unrolled: 4-line block ×3, first 2 shown]
	v_add_f16_e32 v61, v62, v61
	v_add_f16_e32 v58, v59, v58
	;; [unrolled: 1-line block ×4, first 2 shown]
	v_or_b32_e32 v13, v34, v13
	v_lshl_add_u32 v8, v8, 2, 0
	v_pack_b32_f16 v14, v50, v52
	v_add_f16_e32 v79, v82, v79
	v_sub_f16_e32 v82, v133, v131
	v_add_f16_e32 v77, v81, v77
	v_add_f16_e32 v81, v129, v132
	;; [unrolled: 1-line block ×6, first 2 shown]
	ds_write2_b32 v8, v13, v14 offset1:2
	v_pack_b32_f16 v13, v54, v56
	v_pack_b32_f16 v14, v58, v61
	v_add_f16_e32 v79, v82, v79
	v_add_f16_e32 v77, v81, v77
	ds_write2_b32 v8, v13, v14 offset0:4 offset1:6
	v_pack_b32_f16 v13, v64, v67
	v_pack_b32_f16 v14, v71, v78
	s_mov_b32 s2, 0x5040100
	ds_write2_b32 v8, v13, v14 offset0:8 offset1:10
	v_pack_b32_f16 v13, v77, v79
	v_perm_b32 v14, v16, v15, s2
	ds_write2_b32 v8, v13, v14 offset0:12 offset1:14
	v_perm_b32 v13, v26, v25, s2
	v_perm_b32 v14, v23, v24, s2
	ds_write2_b32 v8, v13, v14 offset0:16 offset1:18
	v_perm_b32 v13, v22, v19, s2
	;; [unrolled: 3-line block ×3, first 2 shown]
	ds_write_b32 v8, v13 offset:96
.LBB0_19:
	s_or_b64 exec, exec, s[6:7]
	s_waitcnt lgkmcnt(0)
	s_barrier
	ds_read_b32 v27, v0
	ds_read_b32 v33, v0 offset:1144
	ds_read_b32 v32, v0 offset:2288
	;; [unrolled: 1-line block ×6, first 2 shown]
	s_movk_i32 s2, 0x68
	v_cmp_gt_u32_e64 s[2:3], s2, v5
	v_lshl_add_u32 v14, v7, 2, 0
                                        ; implicit-def: $vgpr13
                                        ; implicit-def: $vgpr8
	s_and_saveexec_b64 s[6:7], s[2:3]
	s_cbranch_execz .LBB0_21
; %bb.20:
	ds_read_b32 v15, v14
	ds_read_b32 v19, v0 offset:4160
	ds_read_b32 v18, v0 offset:5304
	;; [unrolled: 1-line block ×5, first 2 shown]
	ds_read_u16 v23, v0 offset:3018
	ds_read_b32 v24, v0 offset:3016
	s_waitcnt lgkmcnt(7)
	v_lshrrev_b32_e32 v16, 16, v15
	s_waitcnt lgkmcnt(6)
	v_lshrrev_b32_e32 v22, 16, v19
	;; [unrolled: 2-line block ×6, first 2 shown]
.LBB0_21:
	s_or_b64 exec, exec, s[6:7]
	s_movk_i32 s6, 0x4f
	v_mul_lo_u16_sdwa v34, v5, s6 dst_sel:DWORD dst_unused:UNUSED_PAD src0_sel:BYTE_0 src1_sel:DWORD
	v_lshrrev_b16_e32 v40, 11, v34
	v_mul_lo_u16_e32 v34, 26, v40
	v_sub_u16_e32 v41, v5, v34
	v_mov_b32_e32 v34, 6
	v_mul_u32_u24_sdwa v34, v41, v34 dst_sel:DWORD dst_unused:UNUSED_PAD src0_sel:BYTE_0 src1_sel:DWORD
	v_lshlrev_b32_e32 v42, 2, v34
	global_load_dwordx4 v[34:37], v42, s[12:13] offset:96
	global_load_dwordx2 v[38:39], v42, s[12:13] offset:112
	s_waitcnt lgkmcnt(5)
	v_lshrrev_b32_e32 v42, 16, v33
	s_waitcnt lgkmcnt(4)
	v_lshrrev_b32_e32 v43, 16, v32
	;; [unrolled: 2-line block ×4, first 2 shown]
	v_lshrrev_b32_e32 v44, 16, v31
	v_lshrrev_b32_e32 v45, 16, v30
	s_movk_i32 s15, 0x2b26
	s_mov_b32 s8, 0xbb00
	s_mov_b32 s14, 0xbcab
	s_movk_i32 s9, 0x39e0
	s_mov_b32 s16, 0xb9e0
	s_mov_b32 s18, 0xb574
	s_movk_i32 s19, 0x3574
	s_mov_b32 s17, 0xb70e
	s_waitcnt vmcnt(0)
	s_barrier
	v_mul_f16_sdwa v48, v34, v42 dst_sel:DWORD dst_unused:UNUSED_PAD src0_sel:WORD_1 src1_sel:DWORD
	v_mul_f16_sdwa v49, v34, v33 dst_sel:DWORD dst_unused:UNUSED_PAD src0_sel:WORD_1 src1_sel:DWORD
	;; [unrolled: 1-line block ×12, first 2 shown]
	v_fma_f16 v33, v34, v33, v48
	v_fma_f16 v34, v34, v42, -v49
	v_fma_f16 v32, v35, v32, v50
	v_fma_f16 v35, v35, v43, -v51
	;; [unrolled: 2-line block ×6, first 2 shown]
	v_add_f16_e32 v42, v33, v28
	v_add_f16_e32 v43, v34, v39
	v_sub_f16_e32 v28, v33, v28
	v_sub_f16_e32 v33, v34, v39
	v_add_f16_e32 v34, v32, v29
	v_add_f16_e32 v39, v35, v38
	v_sub_f16_e32 v29, v32, v29
	v_sub_f16_e32 v32, v35, v38
	;; [unrolled: 4-line block ×4, first 2 shown]
	v_sub_f16_e32 v42, v42, v35
	v_sub_f16_e32 v43, v43, v38
	;; [unrolled: 1-line block ×4, first 2 shown]
	v_add_f16_e32 v46, v30, v29
	v_add_f16_e32 v47, v31, v32
	v_sub_f16_e32 v48, v30, v29
	v_sub_f16_e32 v49, v31, v32
	;; [unrolled: 1-line block ×3, first 2 shown]
	v_add_f16_e32 v35, v35, v36
	v_add_f16_e32 v36, v38, v37
	v_sub_f16_e32 v30, v28, v30
	v_sub_f16_e32 v31, v33, v31
	;; [unrolled: 1-line block ×3, first 2 shown]
	v_add_f16_e32 v28, v46, v28
	v_add_f16_e32 v33, v47, v33
	v_mul_f16_e32 v37, 0x3a52, v42
	v_mul_f16_e32 v38, 0x3a52, v43
	;; [unrolled: 1-line block ×7, first 2 shown]
	v_add_f16_e32 v50, v35, v27
	v_add_f16_sdwa v27, v36, v27 dst_sel:DWORD dst_unused:UNUSED_PAD src0_sel:DWORD src1_sel:WORD_1
	v_mul_f16_e32 v49, 0xbb00, v32
	v_fma_f16 v34, v34, s15, v37
	v_fma_f16 v39, v39, s15, v38
	v_fma_f16 v42, v44, s9, -v42
	v_fma_f16 v43, v45, s9, -v43
	v_lshlrev_b32_e32 v51, 16, v27
	v_fma_f16 v35, v35, s14, v50
	v_fma_f16 v27, v36, s14, v27
	v_fma_f16 v37, v44, s16, -v37
	v_fma_f16 v38, v45, s16, -v38
	v_fma_f16 v44, v30, s18, v46
	v_fma_f16 v45, v31, s18, v47
	v_fma_f16 v29, v29, s8, -v46
	v_fma_f16 v30, v30, s19, -v48
	;; [unrolled: 1-line block ×4, first 2 shown]
	v_add_f16_e32 v34, v34, v35
	v_add_f16_e32 v39, v39, v27
	;; [unrolled: 1-line block ×6, first 2 shown]
	v_fma_f16 v37, v28, s17, v44
	v_fma_f16 v38, v33, s17, v45
	;; [unrolled: 1-line block ×6, first 2 shown]
	v_add_f16_e32 v31, v38, v34
	v_sub_f16_e32 v33, v39, v37
	v_sub_f16_e32 v45, v27, v28
	v_add_f16_e32 v27, v28, v27
	v_sub_f16_e32 v28, v34, v38
	v_add_f16_e32 v34, v37, v39
	v_mov_b32_e32 v37, 2
	v_add_f16_e32 v44, v30, v35
	v_sub_f16_e32 v46, v42, v32
	v_add_f16_e32 v47, v29, v43
	v_add_f16_e32 v32, v32, v42
	v_sub_f16_e32 v29, v43, v29
	v_sub_f16_e32 v30, v35, v30
	v_mul_u32_u24_e32 v35, 0x2d8, v40
	v_lshlrev_b32_sdwa v37, v37, v41 dst_sel:DWORD dst_unused:UNUSED_PAD src0_sel:DWORD src1_sel:BYTE_0
	v_or_b32_e32 v36, v51, v50
	v_add3_u32 v35, 0, v35, v37
	v_pack_b32_f16 v31, v31, v33
	v_pack_b32_f16 v29, v32, v29
	;; [unrolled: 1-line block ×3, first 2 shown]
	ds_write2_b32 v35, v36, v31 offset1:26
	v_pack_b32_f16 v31, v44, v45
	v_pack_b32_f16 v33, v46, v47
	ds_write2_b32 v35, v29, v27 offset0:104 offset1:130
	v_pack_b32_f16 v27, v28, v34
	ds_write2_b32 v35, v31, v33 offset0:52 offset1:78
	ds_write_b32 v35, v27 offset:624
	s_and_saveexec_b64 s[6:7], s[2:3]
	s_cbranch_execz .LBB0_23
; %bb.22:
	s_movk_i32 s2, 0x4ec5
	v_mul_u32_u24_sdwa v27, v7, s2 dst_sel:DWORD dst_unused:UNUSED_PAD src0_sel:WORD_0 src1_sel:DWORD
	v_lshrrev_b32_e32 v33, 19, v27
	v_mul_lo_u16_e32 v27, 26, v33
	v_sub_u16_e32 v34, v7, v27
	v_mul_u32_u24_e32 v27, 6, v34
	v_lshlrev_b32_e32 v35, 2, v27
	global_load_dwordx4 v[27:30], v35, s[12:13] offset:96
	global_load_dwordx2 v[31:32], v35, s[12:13] offset:112
	s_waitcnt vmcnt(1)
	v_mul_f16_sdwa v35, v26, v27 dst_sel:DWORD dst_unused:UNUSED_PAD src0_sel:DWORD src1_sel:WORD_1
	s_waitcnt vmcnt(0)
	v_mul_f16_sdwa v36, v13, v32 dst_sel:DWORD dst_unused:UNUSED_PAD src0_sel:DWORD src1_sel:WORD_1
	v_mul_f16_sdwa v39, v23, v28 dst_sel:DWORD dst_unused:UNUSED_PAD src0_sel:DWORD src1_sel:WORD_1
	;; [unrolled: 1-line block ×11, first 2 shown]
	v_fma_f16 v25, v25, v27, v35
	v_fma_f16 v8, v8, v32, v36
	;; [unrolled: 1-line block ×4, first 2 shown]
	v_fma_f16 v13, v13, v32, -v41
	v_fma_f16 v26, v26, v27, -v42
	;; [unrolled: 1-line block ×4, first 2 shown]
	v_fma_f16 v18, v18, v30, v37
	v_fma_f16 v19, v19, v29, v38
	v_fma_f16 v22, v22, v29, -v43
	v_fma_f16 v21, v21, v30, -v44
	v_sub_f16_e32 v27, v25, v8
	v_sub_f16_e32 v29, v24, v17
	v_add_f16_e32 v30, v26, v13
	v_add_f16_e32 v32, v23, v20
	v_add_f16_e32 v8, v25, v8
	v_add_f16_e32 v17, v24, v17
	v_sub_f16_e32 v28, v18, v19
	v_add_f16_e32 v31, v22, v21
	v_add_f16_e32 v18, v19, v18
	v_sub_f16_e32 v13, v26, v13
	v_sub_f16_e32 v19, v21, v22
	;; [unrolled: 1-line block ×3, first 2 shown]
	v_add_f16_e32 v26, v32, v30
	v_add_f16_e32 v36, v17, v8
	v_sub_f16_e32 v21, v27, v28
	v_sub_f16_e32 v22, v28, v29
	v_add_f16_e32 v23, v28, v29
	v_sub_f16_e32 v24, v30, v31
	v_sub_f16_e32 v28, v8, v18
	;; [unrolled: 1-line block ×5, first 2 shown]
	v_add_f16_e32 v19, v19, v20
	v_sub_f16_e32 v29, v29, v27
	v_sub_f16_e32 v8, v17, v8
	;; [unrolled: 1-line block ×3, first 2 shown]
	v_add_f16_e32 v26, v31, v26
	v_add_f16_e32 v18, v18, v36
	v_sub_f16_e32 v25, v31, v32
	v_sub_f16_e32 v30, v32, v30
	v_mul_f16_e32 v20, 0x3846, v22
	v_add_f16_e32 v22, v23, v27
	v_mul_f16_e32 v23, 0x3a52, v24
	v_mul_f16_e32 v27, 0x3a52, v28
	;; [unrolled: 1-line block ×4, first 2 shown]
	v_add_f16_e32 v13, v19, v13
	v_mul_f16_e32 v19, 0xbb00, v29
	v_mul_f16_e32 v32, 0xbb00, v17
	v_add_f16_e32 v16, v16, v26
	v_add_f16_e32 v15, v15, v18
	v_mul_f16_e32 v24, 0x2b26, v25
	v_fma_f16 v36, v21, s18, v20
	v_fma_f16 v25, v25, s15, v23
	;; [unrolled: 1-line block ×4, first 2 shown]
	v_fma_f16 v19, v21, s19, -v19
	v_fma_f16 v21, v30, s16, -v23
	;; [unrolled: 1-line block ×4, first 2 shown]
	v_fma_f16 v26, v26, s14, v16
	v_fma_f16 v18, v18, s14, v15
	v_fma_f16 v17, v17, s8, -v31
	v_fma_f16 v8, v8, s9, -v28
	v_fma_f16 v32, v22, s17, v36
	v_fma_f16 v36, v13, s17, v38
	;; [unrolled: 1-line block ×4, first 2 shown]
	v_add_f16_e32 v21, v21, v26
	v_add_f16_e32 v23, v23, v18
	v_fma_f16 v24, v30, s9, -v24
	v_fma_f16 v20, v29, s8, -v20
	v_fma_f16 v13, v13, s17, v17
	v_add_f16_e32 v8, v8, v18
	v_add_f16_e32 v39, v19, v21
	v_sub_f16_e32 v40, v23, v27
	v_add_f16_e32 v24, v24, v26
	v_fma_f16 v20, v22, s17, v20
	v_add_f16_e32 v17, v13, v8
	v_sub_f16_e32 v8, v8, v13
	v_sub_f16_e32 v13, v21, v19
	v_add_f16_e32 v19, v27, v23
	v_mul_lo_u16_e32 v23, 0xb6, v33
	v_add_f16_e32 v35, v35, v18
	v_sub_f16_e32 v22, v24, v20
	v_add_f16_e32 v18, v20, v24
	v_lshlrev_b32_e32 v24, 2, v34
	v_lshlrev_b32_e32 v23, 2, v23
	v_add_f16_e32 v25, v25, v26
	v_add3_u32 v23, 0, v24, v23
	v_pack_b32_f16 v13, v19, v13
	v_pack_b32_f16 v8, v8, v18
	v_add_f16_e32 v37, v32, v25
	v_sub_f16_e32 v38, v35, v36
	v_sub_f16_e32 v20, v25, v32
	v_add_f16_e32 v21, v36, v35
	ds_write2_b32 v23, v13, v8 offset0:52 offset1:78
	v_pack_b32_f16 v8, v17, v22
	v_pack_b32_f16 v13, v40, v39
	;; [unrolled: 1-line block ×4, first 2 shown]
	ds_write2_b32 v23, v8, v13 offset0:104 offset1:130
	v_pack_b32_f16 v8, v38, v37
	ds_write2_b32 v23, v15, v16 offset1:26
	ds_write_b32 v23, v8 offset:624
.LBB0_23:
	s_or_b64 exec, exec, s[6:7]
	v_mul_u32_u24_e32 v8, 10, v5
	v_lshlrev_b32_e32 v8, 2, v8
	s_waitcnt lgkmcnt(0)
	s_barrier
	global_load_dwordx4 v[19:22], v8, s[12:13] offset:720
	global_load_dwordx4 v[23:26], v8, s[12:13] offset:736
	global_load_dwordx2 v[27:28], v8, s[12:13] offset:752
	ds_read_b32 v8, v0
	ds_read_b32 v13, v14
	v_lshl_add_u32 v17, v11, 2, 0
	v_lshl_add_u32 v18, v12, 2, 0
	;; [unrolled: 1-line block ×4, first 2 shown]
	v_add_u32_e32 v33, 0x1000, v0
	v_add_u32_e32 v34, 0x1600, v0
	ds_read_b32 v35, v17
	ds_read_b32 v36, v16
	;; [unrolled: 1-line block ×3, first 2 shown]
	ds_read2_b32 v[29:30], v33 offset0:68 offset1:250
	ds_read2_b32 v[31:32], v34 offset0:48 offset1:230
	ds_read_b32 v38, v18
	ds_read_b32 v39, v0 offset:7280
	s_waitcnt lgkmcnt(7)
	v_lshrrev_b32_e32 v40, 16, v13
	s_waitcnt lgkmcnt(3)
	v_lshrrev_b32_e32 v41, 16, v29
	v_lshrrev_b32_e32 v47, 16, v35
	s_waitcnt lgkmcnt(1)
	v_lshrrev_b32_e32 v46, 16, v38
	v_lshrrev_b32_e32 v48, 16, v36
	;; [unrolled: 1-line block ×6, first 2 shown]
	s_waitcnt lgkmcnt(0)
	v_lshrrev_b32_e32 v45, 16, v39
	s_mov_b32 s9, 0xb853
	s_movk_i32 s14, 0x3abb
	s_movk_i32 s15, 0x3853
	s_mov_b32 s3, 0xbb47
	s_movk_i32 s6, 0x36a6
	s_movk_i32 s7, 0x3b47
	s_mov_b32 s2, 0xbbeb
	s_mov_b32 s8, 0xb08e
	s_movk_i32 s16, 0x3beb
	s_mov_b32 s17, 0xba0c
	s_mov_b32 s18, 0xb93d
	s_movk_i32 s19, 0x3a0c
	s_mov_b32 s20, 0xb482
	s_mov_b32 s21, 0xbbad
	s_movk_i32 s22, 0x3482
	s_waitcnt vmcnt(0)
	s_barrier
	v_mul_f16_sdwa v50, v19, v40 dst_sel:DWORD dst_unused:UNUSED_PAD src0_sel:WORD_1 src1_sel:DWORD
	v_mul_f16_sdwa v51, v19, v13 dst_sel:DWORD dst_unused:UNUSED_PAD src0_sel:WORD_1 src1_sel:DWORD
	;; [unrolled: 1-line block ×4, first 2 shown]
	v_mul_f16_sdwa v60, v41, v24 dst_sel:DWORD dst_unused:UNUSED_PAD src0_sel:DWORD src1_sel:WORD_1
	v_mul_f16_sdwa v61, v29, v24 dst_sel:DWORD dst_unused:UNUSED_PAD src0_sel:DWORD src1_sel:WORD_1
	v_fma_f16 v13, v19, v13, v50
	v_fma_f16 v19, v19, v40, -v51
	v_mul_f16_sdwa v54, v21, v47 dst_sel:DWORD dst_unused:UNUSED_PAD src0_sel:WORD_1 src1_sel:DWORD
	v_mul_f16_sdwa v55, v21, v35 dst_sel:DWORD dst_unused:UNUSED_PAD src0_sel:WORD_1 src1_sel:DWORD
	v_fma_f16 v38, v20, v38, v52
	v_fma_f16 v20, v20, v46, -v53
	v_fma_f16 v29, v29, v24, v60
	v_fma_f16 v24, v41, v24, -v61
	v_add_f16_e32 v40, v13, v8
	v_add_f16_sdwa v41, v19, v8 dst_sel:DWORD dst_unused:UNUSED_PAD src0_sel:DWORD src1_sel:WORD_1
	v_mul_f16_sdwa v56, v22, v48 dst_sel:DWORD dst_unused:UNUSED_PAD src0_sel:WORD_1 src1_sel:DWORD
	v_mul_f16_sdwa v57, v22, v36 dst_sel:DWORD dst_unused:UNUSED_PAD src0_sel:WORD_1 src1_sel:DWORD
	v_fma_f16 v35, v21, v35, v54
	v_fma_f16 v21, v21, v47, -v55
	v_add_f16_e32 v40, v40, v38
	v_add_f16_e32 v41, v41, v20
	v_mul_f16_sdwa v58, v23, v49 dst_sel:DWORD dst_unused:UNUSED_PAD src0_sel:WORD_1 src1_sel:DWORD
	v_mul_f16_sdwa v59, v23, v37 dst_sel:DWORD dst_unused:UNUSED_PAD src0_sel:WORD_1 src1_sel:DWORD
	v_fma_f16 v36, v22, v36, v56
	v_fma_f16 v22, v22, v48, -v57
	v_add_f16_e32 v40, v40, v35
	v_add_f16_e32 v41, v41, v21
	v_fma_f16 v37, v23, v37, v58
	v_fma_f16 v23, v23, v49, -v59
	v_add_f16_e32 v40, v40, v36
	v_add_f16_e32 v41, v41, v22
	v_mul_f16_sdwa v62, v42, v25 dst_sel:DWORD dst_unused:UNUSED_PAD src0_sel:DWORD src1_sel:WORD_1
	v_mul_f16_sdwa v63, v30, v25 dst_sel:DWORD dst_unused:UNUSED_PAD src0_sel:DWORD src1_sel:WORD_1
	v_add_f16_e32 v40, v40, v37
	v_add_f16_e32 v41, v41, v23
	v_mul_f16_sdwa v64, v43, v26 dst_sel:DWORD dst_unused:UNUSED_PAD src0_sel:DWORD src1_sel:WORD_1
	v_mul_f16_sdwa v65, v31, v26 dst_sel:DWORD dst_unused:UNUSED_PAD src0_sel:DWORD src1_sel:WORD_1
	v_fma_f16 v30, v30, v25, v62
	v_fma_f16 v25, v42, v25, -v63
	v_add_f16_e32 v40, v40, v29
	v_add_f16_e32 v41, v41, v24
	v_mul_f16_sdwa v66, v44, v27 dst_sel:DWORD dst_unused:UNUSED_PAD src0_sel:DWORD src1_sel:WORD_1
	v_mul_f16_sdwa v67, v32, v27 dst_sel:DWORD dst_unused:UNUSED_PAD src0_sel:DWORD src1_sel:WORD_1
	v_fma_f16 v31, v31, v26, v64
	v_fma_f16 v26, v43, v26, -v65
	;; [unrolled: 6-line block ×3, first 2 shown]
	v_add_f16_e32 v40, v40, v31
	v_add_f16_e32 v41, v41, v26
	v_fma_f16 v39, v39, v28, v68
	v_fma_f16 v28, v45, v28, -v69
	v_add_f16_e32 v40, v40, v32
	v_add_f16_e32 v41, v41, v27
	;; [unrolled: 1-line block ×3, first 2 shown]
	v_add_f16_sdwa v41, v41, v28 dst_sel:WORD_1 dst_unused:UNUSED_PAD src0_sel:DWORD src1_sel:DWORD
	v_or_b32_e32 v40, v41, v40
	v_add_f16_e32 v41, v19, v28
	v_sub_f16_e32 v19, v19, v28
	v_add_f16_e32 v42, v13, v39
	v_sub_f16_e32 v13, v13, v39
	v_mul_f16_e32 v28, 0xb853, v19
	v_mul_f16_e32 v43, 0x3abb, v41
	;; [unrolled: 1-line block ×10, first 2 shown]
	v_fma_f16 v39, v42, s14, v28
	v_fma_f16 v44, v13, s15, v43
	v_fma_f16 v28, v42, s14, -v28
	v_fma_f16 v43, v13, s9, v43
	v_fma_f16 v46, v42, s6, v45
	v_fma_f16 v48, v13, s7, v47
	v_fma_f16 v45, v42, s6, -v45
	v_fma_f16 v47, v13, s3, v47
	v_fma_f16 v50, v42, s8, v49
	v_fma_f16 v52, v13, s16, v51
	v_fma_f16 v49, v42, s8, -v49
	v_fma_f16 v51, v13, s2, v51
	v_fma_f16 v54, v42, s18, v53
	v_fma_f16 v56, v13, s19, v55
	v_fma_f16 v53, v42, s18, -v53
	v_fma_f16 v55, v13, s17, v55
	v_fma_f16 v57, v42, s21, v19
	v_fma_f16 v58, v13, s22, v41
	v_fma_f16 v19, v42, s21, -v19
	v_fma_f16 v13, v13, s20, v41
	v_add_f16_e32 v41, v20, v27
	v_sub_f16_e32 v20, v20, v27
	v_add_f16_e32 v39, v39, v8
	v_add_f16_sdwa v44, v44, v8 dst_sel:DWORD dst_unused:UNUSED_PAD src0_sel:DWORD src1_sel:WORD_1
	v_add_f16_e32 v28, v28, v8
	v_add_f16_sdwa v43, v43, v8 dst_sel:DWORD dst_unused:UNUSED_PAD src0_sel:DWORD src1_sel:WORD_1
	;; [unrolled: 2-line block ×10, first 2 shown]
	v_add_f16_e32 v13, v38, v32
	v_mul_f16_e32 v27, 0xbb47, v20
	v_sub_f16_e32 v32, v38, v32
	v_fma_f16 v38, v13, s6, v27
	v_add_f16_e32 v38, v38, v39
	v_mul_f16_e32 v39, 0x36a6, v41
	v_fma_f16 v27, v13, s6, -v27
	v_fma_f16 v42, v32, s7, v39
	v_add_f16_e32 v27, v27, v28
	v_fma_f16 v28, v32, s3, v39
	v_mul_f16_e32 v39, 0xba0c, v20
	v_add_f16_e32 v42, v42, v44
	v_add_f16_e32 v28, v28, v43
	v_fma_f16 v43, v13, s18, v39
	v_mul_f16_e32 v44, 0xb93d, v41
	v_fma_f16 v39, v13, s18, -v39
	v_add_f16_e32 v43, v43, v46
	v_fma_f16 v46, v32, s19, v44
	v_add_f16_e32 v39, v39, v45
	v_fma_f16 v44, v32, s17, v44
	v_mul_f16_e32 v45, 0x3482, v20
	v_add_f16_e32 v46, v46, v48
	v_add_f16_e32 v44, v44, v47
	v_fma_f16 v47, v13, s21, v45
	v_mul_f16_e32 v48, 0xbbad, v41
	v_fma_f16 v45, v13, s21, -v45
	v_add_f16_e32 v47, v47, v50
	v_fma_f16 v50, v32, s20, v48
	v_add_f16_e32 v45, v45, v49
	v_fma_f16 v48, v32, s22, v48
	v_mul_f16_e32 v49, 0x3beb, v20
	v_add_f16_e32 v48, v48, v51
	v_fma_f16 v51, v13, s8, v49
	v_fma_f16 v49, v13, s8, -v49
	v_mul_f16_e32 v20, 0x3853, v20
	v_add_f16_e32 v50, v50, v52
	v_mul_f16_e32 v52, 0xb08e, v41
	v_add_f16_e32 v49, v49, v53
	v_fma_f16 v53, v13, s14, v20
	v_mul_f16_e32 v41, 0x3abb, v41
	v_fma_f16 v13, v13, s14, -v20
	v_add_f16_e32 v13, v13, v19
	v_fma_f16 v19, v32, s15, v41
	v_add_f16_e32 v20, v21, v26
	v_sub_f16_e32 v21, v21, v26
	v_add_f16_e32 v51, v51, v54
	v_fma_f16 v54, v32, s2, v52
	v_fma_f16 v52, v32, s16, v52
	v_add_f16_e32 v8, v19, v8
	v_add_f16_e32 v19, v35, v31
	v_mul_f16_e32 v26, 0xbbeb, v21
	v_add_f16_e32 v52, v52, v55
	v_fma_f16 v55, v32, s9, v41
	v_sub_f16_e32 v31, v35, v31
	v_fma_f16 v32, v19, s8, v26
	v_mul_f16_e32 v35, 0xb08e, v20
	v_fma_f16 v26, v19, s8, -v26
	v_add_f16_e32 v26, v26, v27
	v_fma_f16 v27, v31, s2, v35
	v_add_f16_e32 v27, v27, v28
	v_mul_f16_e32 v28, 0x3482, v21
	v_add_f16_e32 v32, v32, v38
	v_fma_f16 v38, v31, s16, v35
	v_fma_f16 v35, v19, s21, v28
	v_mul_f16_e32 v41, 0xbbad, v20
	v_fma_f16 v28, v19, s21, -v28
	v_add_f16_e32 v38, v38, v42
	v_fma_f16 v42, v31, s20, v41
	v_add_f16_e32 v28, v28, v39
	v_fma_f16 v39, v31, s22, v41
	v_mul_f16_e32 v41, 0x3b47, v21
	v_add_f16_e32 v35, v35, v43
	v_fma_f16 v43, v19, s6, v41
	v_fma_f16 v41, v19, s6, -v41
	v_add_f16_e32 v39, v39, v44
	v_mul_f16_e32 v44, 0x36a6, v20
	v_add_f16_e32 v41, v41, v45
	v_mul_f16_e32 v45, 0xb853, v21
	v_add_f16_e32 v42, v42, v46
	v_add_f16_e32 v43, v43, v47
	v_fma_f16 v46, v31, s3, v44
	v_fma_f16 v44, v31, s7, v44
	;; [unrolled: 1-line block ×3, first 2 shown]
	v_fma_f16 v45, v19, s14, -v45
	v_mul_f16_e32 v21, 0xba0c, v21
	v_add_f16_e32 v44, v44, v48
	v_mul_f16_e32 v48, 0x3abb, v20
	v_add_f16_e32 v45, v45, v49
	v_fma_f16 v49, v19, s18, v21
	v_mul_f16_e32 v20, 0xb93d, v20
	v_fma_f16 v19, v19, s18, -v21
	v_add_f16_e32 v47, v47, v51
	v_fma_f16 v51, v31, s19, v20
	v_add_f16_e32 v13, v19, v13
	v_fma_f16 v19, v31, s17, v20
	v_add_f16_e32 v20, v22, v25
	v_sub_f16_e32 v22, v22, v25
	v_add_f16_e32 v8, v19, v8
	v_add_f16_e32 v19, v36, v30
	v_mul_f16_e32 v25, 0xba0c, v22
	v_add_f16_e32 v46, v46, v50
	v_fma_f16 v50, v31, s15, v48
	v_fma_f16 v48, v31, s9, v48
	v_sub_f16_e32 v21, v36, v30
	v_fma_f16 v30, v19, s18, v25
	v_mul_f16_e32 v31, 0xb93d, v20
	v_fma_f16 v25, v19, s18, -v25
	v_add_f16_e32 v25, v25, v26
	v_fma_f16 v26, v21, s17, v31
	v_add_f16_e32 v26, v26, v27
	v_mul_f16_e32 v27, 0x3beb, v22
	v_add_f16_e32 v30, v30, v32
	v_fma_f16 v32, v21, s19, v31
	v_fma_f16 v31, v19, s8, v27
	v_add_f16_e32 v31, v31, v35
	v_mul_f16_e32 v35, 0xb08e, v20
	v_fma_f16 v27, v19, s8, -v27
	v_fma_f16 v36, v21, s2, v35
	v_add_f16_e32 v27, v27, v28
	v_fma_f16 v28, v21, s16, v35
	v_mul_f16_e32 v35, 0xb853, v22
	v_add_f16_e32 v32, v32, v38
	v_fma_f16 v38, v19, s14, v35
	v_fma_f16 v35, v19, s14, -v35
	v_add_f16_e32 v28, v28, v39
	v_mul_f16_e32 v39, 0x3abb, v20
	v_add_f16_e32 v35, v35, v41
	v_mul_f16_e32 v41, 0xb482, v22
	v_add_f16_e32 v36, v36, v42
	v_add_f16_e32 v38, v38, v43
	v_fma_f16 v42, v21, s15, v39
	v_fma_f16 v39, v21, s9, v39
	;; [unrolled: 1-line block ×3, first 2 shown]
	v_fma_f16 v41, v19, s21, -v41
	v_mul_f16_e32 v22, 0x3b47, v22
	v_add_f16_e32 v39, v39, v44
	v_mul_f16_e32 v44, 0xbbad, v20
	v_add_f16_e32 v41, v41, v45
	v_fma_f16 v45, v19, s6, v22
	v_mul_f16_e32 v20, 0x36a6, v20
	v_fma_f16 v19, v19, s6, -v22
	v_add_f16_e32 v13, v19, v13
	v_fma_f16 v19, v21, s7, v20
	v_sub_f16_e32 v22, v23, v24
	v_add_f16_e32 v43, v43, v47
	v_fma_f16 v47, v21, s3, v20
	v_add_f16_e32 v8, v19, v8
	v_add_f16_e32 v19, v37, v29
	;; [unrolled: 1-line block ×3, first 2 shown]
	v_mul_f16_e32 v23, 0xb482, v22
	v_add_f16_e32 v42, v42, v46
	v_fma_f16 v46, v21, s22, v44
	v_fma_f16 v44, v21, s20, v44
	v_sub_f16_e32 v21, v37, v29
	v_fma_f16 v24, v19, s21, v23
	v_mul_f16_e32 v29, 0xbbad, v20
	v_fma_f16 v23, v19, s21, -v23
	v_add_f16_e32 v23, v23, v25
	v_fma_f16 v25, v21, s20, v29
	v_add_f16_e32 v25, v25, v26
	v_mul_f16_e32 v26, 0x3853, v22
	v_add_f16_e32 v24, v24, v30
	v_fma_f16 v30, v21, s22, v29
	v_fma_f16 v29, v19, s14, v26
	v_add_f16_e32 v29, v29, v31
	v_mul_f16_e32 v31, 0x3abb, v20
	v_fma_f16 v26, v19, s14, -v26
	v_add_f16_e32 v26, v26, v27
	v_fma_f16 v27, v21, s15, v31
	v_add_f16_e32 v30, v30, v32
	v_fma_f16 v32, v21, s9, v31
	v_add_f16_e32 v27, v27, v28
	v_mul_f16_e32 v28, 0xba0c, v22
	v_add_f16_e32 v32, v32, v36
	v_fma_f16 v31, v19, s18, v28
	v_mul_f16_e32 v36, 0xb93d, v20
	v_fma_f16 v28, v19, s18, -v28
	v_fma_f16 v37, v21, s19, v36
	v_add_f16_e32 v28, v28, v35
	v_fma_f16 v35, v21, s17, v36
	v_mul_f16_e32 v36, 0x3b47, v22
	v_add_f16_e32 v31, v31, v38
	v_fma_f16 v38, v19, s6, v36
	v_fma_f16 v36, v19, s6, -v36
	v_mul_f16_e32 v22, 0xbbeb, v22
	v_add_f16_e32 v48, v48, v52
	v_add_f16_e32 v35, v35, v39
	v_mul_f16_e32 v39, 0x36a6, v20
	v_add_f16_e32 v36, v36, v41
	v_fma_f16 v41, v19, s8, v22
	v_mul_f16_e32 v20, 0xb08e, v20
	v_fma_f16 v19, v19, s8, -v22
	v_add_f16_e32 v54, v54, v56
	v_add_f16_e32 v53, v53, v57
	;; [unrolled: 1-line block ×5, first 2 shown]
	v_fma_f16 v42, v21, s3, v39
	v_fma_f16 v39, v21, s7, v39
	v_add_f16_e32 v13, v19, v13
	v_fma_f16 v19, v21, s2, v20
	v_add_f16_e32 v50, v50, v54
	v_add_f16_e32 v49, v49, v53
	;; [unrolled: 1-line block ×9, first 2 shown]
	v_fma_f16 v43, v21, s16, v20
	v_pack_b32_f16 v19, v24, v30
	v_pack_b32_f16 v8, v13, v8
	;; [unrolled: 1-line block ×3, first 2 shown]
	v_add_f16_e32 v42, v42, v46
	v_add_f16_e32 v41, v41, v45
	;; [unrolled: 1-line block ×3, first 2 shown]
	ds_write2_b32 v0, v40, v19 offset1:182
	v_pack_b32_f16 v19, v29, v32
	v_pack_b32_f16 v20, v31, v37
	v_add_u32_e32 v21, 0x500, v0
	ds_write2_b32 v33, v8, v13 offset0:68 offset1:250
	v_pack_b32_f16 v8, v28, v35
	v_pack_b32_f16 v13, v26, v27
	ds_write2_b32 v21, v19, v20 offset0:44 offset1:226
	v_pack_b32_f16 v19, v38, v42
	v_pack_b32_f16 v20, v41, v43
	v_add_u32_e32 v21, 0xb00, v0
	ds_write2_b32 v34, v8, v13 offset0:48 offset1:230
	v_pack_b32_f16 v8, v23, v25
	ds_write2_b32 v21, v19, v20 offset0:24 offset1:206
	ds_write_b32 v0, v8 offset:7280
	s_waitcnt lgkmcnt(0)
	s_barrier
	ds_read_b32 v8, v0
	s_add_u32 s8, s12, 0x1f40
	s_addc_u32 s9, s13, 0
	v_sub_u32_e32 v19, 0, v6
	v_cmp_ne_u32_e64 s[2:3], 0, v5
                                        ; implicit-def: $vgpr20
                                        ; implicit-def: $vgpr6
                                        ; implicit-def: $vgpr21
	s_and_saveexec_b64 s[6:7], s[2:3]
	s_xor_b64 s[6:7], exec, s[6:7]
	s_cbranch_execz .LBB0_25
; %bb.24:
	v_mov_b32_e32 v6, 0
	v_lshlrev_b64 v[20:21], 2, v[5:6]
	v_mov_b32_e32 v6, s9
	v_add_co_u32_e64 v20, s[2:3], s8, v20
	v_addc_co_u32_e64 v21, s[2:3], v6, v21, s[2:3]
	global_load_dword v13, v[20:21], off
	ds_read_b32 v6, v19 offset:8008
	s_waitcnt lgkmcnt(0)
	v_add_f16_sdwa v21, v6, v8 dst_sel:DWORD dst_unused:UNUSED_PAD src0_sel:WORD_1 src1_sel:WORD_1
	v_sub_f16_e32 v22, v8, v6
	v_add_f16_e32 v20, v6, v8
	v_sub_f16_sdwa v6, v8, v6 dst_sel:DWORD dst_unused:UNUSED_PAD src0_sel:WORD_1 src1_sel:WORD_1
	v_mul_f16_e32 v8, 0.5, v21
	v_mul_f16_e32 v22, 0.5, v22
	;; [unrolled: 1-line block ×3, first 2 shown]
	s_waitcnt vmcnt(0)
	v_lshrrev_b32_e32 v21, 16, v13
	v_mul_f16_e32 v23, v21, v22
	v_fma_f16 v24, v8, v21, v6
	v_fma_f16 v25, v8, v21, -v6
	v_fma_f16 v6, v20, 0.5, v23
	v_fma_f16 v20, v20, 0.5, -v23
	v_fma_f16 v23, v13, v8, v6
	v_fma_f16 v21, -v13, v22, v24
	v_fma_f16 v6, -v13, v8, v20
	ds_write_b16 v0, v23
	v_fma_f16 v20, -v13, v22, v25
                                        ; implicit-def: $vgpr8
.LBB0_25:
	s_andn2_saveexec_b64 s[2:3], s[6:7]
	s_cbranch_execz .LBB0_27
; %bb.26:
	v_mov_b32_e32 v21, 0
	ds_read_u16 v13, v21 offset:4006
	s_waitcnt lgkmcnt(1)
	v_add_f16_sdwa v20, v8, v8 dst_sel:DWORD dst_unused:UNUSED_PAD src0_sel:WORD_1 src1_sel:DWORD
	v_sub_f16_sdwa v6, v8, v8 dst_sel:DWORD dst_unused:UNUSED_PAD src0_sel:DWORD src1_sel:WORD_1
	ds_write_b16 v0, v20
	v_mov_b32_e32 v20, 0
	s_waitcnt lgkmcnt(1)
	v_xor_b32_e32 v8, 0x8000, v13
	ds_write_b16 v21, v8 offset:4006
.LBB0_27:
	s_or_b64 exec, exec, s[2:3]
	s_waitcnt lgkmcnt(0)
	v_mov_b32_e32 v8, 0
	v_lshlrev_b64 v[22:23], 2, v[7:8]
	v_mov_b32_e32 v7, s9
	v_add_co_u32_e64 v22, s[2:3], s8, v22
	v_addc_co_u32_e64 v23, s[2:3], v7, v23, s[2:3]
	global_load_dword v22, v[22:23], off
	v_mov_b32_e32 v13, v8
	v_lshlrev_b64 v[12:13], 2, v[12:13]
	ds_write_b16 v0, v21 offset:2
	v_add_co_u32_e64 v12, s[2:3], s8, v12
	v_addc_co_u32_e64 v13, s[2:3], v7, v13, s[2:3]
	global_load_dword v13, v[12:13], off
	v_mov_b32_e32 v12, v8
	v_lshlrev_b64 v[11:12], 2, v[11:12]
	v_mov_b32_e32 v0, s9
	v_add_co_u32_e64 v11, s[2:3], s8, v11
	v_addc_co_u32_e64 v12, s[2:3], v7, v12, s[2:3]
	global_load_dword v12, v[11:12], off
	s_mov_b32 s2, 0x5040100
	v_perm_b32 v6, v20, v6, s2
	v_mov_b32_e32 v11, v8
	ds_write_b32 v19, v6 offset:8008
	v_lshlrev_b64 v[6:7], 2, v[10:11]
	ds_read_b32 v20, v19 offset:7280
	ds_read_b32 v10, v14
	v_add_co_u32_e64 v6, s[2:3], s8, v6
	v_addc_co_u32_e64 v7, s[2:3], v0, v7, s[2:3]
	global_load_dword v0, v[6:7], off
	s_mov_b32 s6, 0xffff
	s_waitcnt lgkmcnt(0)
	v_pk_add_f16 v6, v10, v20 neg_lo:[0,1] neg_hi:[0,1]
	v_pk_add_f16 v7, v10, v20
	v_bfi_b32 v10, s6, v6, v7
	v_bfi_b32 v6, s6, v7, v6
	v_pk_mul_f16 v7, v10, 0.5 op_sel_hi:[1,0]
	v_pk_mul_f16 v6, v6, 0.5 op_sel_hi:[1,0]
	s_waitcnt vmcnt(3)
	v_pk_fma_f16 v10, v22, v7, v6 op_sel:[1,0,0]
	v_pk_mul_f16 v11, v22, v7 op_sel_hi:[0,1]
	v_pk_fma_f16 v20, v22, v7, v6 op_sel:[1,0,0] neg_lo:[1,0,0] neg_hi:[1,0,0]
	v_pk_fma_f16 v6, v22, v7, v6 op_sel:[1,0,0] neg_lo:[0,0,1] neg_hi:[0,0,1]
	v_pk_add_f16 v7, v10, v11 op_sel:[0,1] op_sel_hi:[1,0]
	v_pk_add_f16 v10, v10, v11 op_sel:[0,1] op_sel_hi:[1,0] neg_lo:[0,1] neg_hi:[0,1]
	v_pk_add_f16 v20, v20, v11 op_sel:[0,1] op_sel_hi:[1,0] neg_lo:[0,1] neg_hi:[0,1]
	v_pk_add_f16 v6, v6, v11 op_sel:[0,1] op_sel_hi:[1,0] neg_lo:[0,1] neg_hi:[0,1]
	v_bfi_b32 v7, s6, v7, v10
	v_bfi_b32 v6, s6, v20, v6
	ds_write_b32 v14, v7
	ds_write_b32 v19, v6 offset:7280
	ds_read_b32 v6, v18
	ds_read_b32 v7, v19 offset:6552
	s_waitcnt lgkmcnt(0)
	v_pk_add_f16 v10, v6, v7 neg_lo:[0,1] neg_hi:[0,1]
	v_pk_add_f16 v6, v6, v7
	v_bfi_b32 v7, s6, v10, v6
	v_bfi_b32 v6, s6, v6, v10
	v_pk_mul_f16 v7, v7, 0.5 op_sel_hi:[1,0]
	v_pk_mul_f16 v6, v6, 0.5 op_sel_hi:[1,0]
	s_waitcnt vmcnt(2)
	v_pk_fma_f16 v10, v13, v7, v6 op_sel:[1,0,0]
	v_pk_mul_f16 v11, v13, v7 op_sel_hi:[0,1]
	v_pk_fma_f16 v14, v13, v7, v6 op_sel:[1,0,0] neg_lo:[1,0,0] neg_hi:[1,0,0]
	v_pk_fma_f16 v6, v13, v7, v6 op_sel:[1,0,0] neg_lo:[0,0,1] neg_hi:[0,0,1]
	v_pk_add_f16 v7, v10, v11 op_sel:[0,1] op_sel_hi:[1,0]
	v_pk_add_f16 v10, v10, v11 op_sel:[0,1] op_sel_hi:[1,0] neg_lo:[0,1] neg_hi:[0,1]
	v_pk_add_f16 v13, v14, v11 op_sel:[0,1] op_sel_hi:[1,0] neg_lo:[0,1] neg_hi:[0,1]
	v_pk_add_f16 v6, v6, v11 op_sel:[0,1] op_sel_hi:[1,0] neg_lo:[0,1] neg_hi:[0,1]
	v_bfi_b32 v7, s6, v7, v10
	v_bfi_b32 v6, s6, v13, v6
	ds_write_b32 v18, v7
	ds_write_b32 v19, v6 offset:6552
	ds_read_b32 v6, v17
	ds_read_b32 v7, v19 offset:5824
	;; [unrolled: 22-line block ×3, first 2 shown]
	s_waitcnt lgkmcnt(0)
	v_pk_add_f16 v10, v6, v7 neg_lo:[0,1] neg_hi:[0,1]
	v_pk_add_f16 v6, v6, v7
	v_bfi_b32 v7, s6, v10, v6
	v_bfi_b32 v6, s6, v6, v10
	v_pk_mul_f16 v7, v7, 0.5 op_sel_hi:[1,0]
	v_pk_mul_f16 v6, v6, 0.5 op_sel_hi:[1,0]
	s_waitcnt vmcnt(0)
	v_pk_fma_f16 v10, v0, v7, v6 op_sel:[1,0,0]
	v_pk_mul_f16 v11, v0, v7 op_sel_hi:[0,1]
	v_pk_fma_f16 v12, v0, v7, v6 op_sel:[1,0,0] neg_lo:[1,0,0] neg_hi:[1,0,0]
	v_pk_fma_f16 v0, v0, v7, v6 op_sel:[1,0,0] neg_lo:[0,0,1] neg_hi:[0,0,1]
	v_pk_add_f16 v6, v10, v11 op_sel:[0,1] op_sel_hi:[1,0]
	v_pk_add_f16 v7, v10, v11 op_sel:[0,1] op_sel_hi:[1,0] neg_lo:[0,1] neg_hi:[0,1]
	v_pk_add_f16 v10, v12, v11 op_sel:[0,1] op_sel_hi:[1,0] neg_lo:[0,1] neg_hi:[0,1]
	;; [unrolled: 1-line block ×3, first 2 shown]
	v_bfi_b32 v6, s6, v6, v7
	v_bfi_b32 v0, s6, v10, v0
	ds_write_b32 v16, v6
	ds_write_b32 v19, v0 offset:5096
	s_and_saveexec_b64 s[2:3], vcc
	s_cbranch_execz .LBB0_29
; %bb.28:
	v_mov_b32_e32 v10, v8
	v_lshlrev_b64 v[6:7], 2, v[9:10]
	v_mov_b32_e32 v0, s9
	v_add_co_u32_e32 v6, vcc, s8, v6
	v_addc_co_u32_e32 v7, vcc, v0, v7, vcc
	global_load_dword v0, v[6:7], off
	ds_read_b32 v6, v15
	ds_read_b32 v7, v19 offset:4368
	s_waitcnt lgkmcnt(0)
	v_pk_add_f16 v8, v6, v7 neg_lo:[0,1] neg_hi:[0,1]
	v_pk_add_f16 v6, v6, v7
	v_bfi_b32 v7, s6, v8, v6
	v_bfi_b32 v6, s6, v6, v8
	v_pk_mul_f16 v7, v7, 0.5 op_sel_hi:[1,0]
	v_pk_mul_f16 v6, v6, 0.5 op_sel_hi:[1,0]
	s_waitcnt vmcnt(0)
	v_pk_fma_f16 v8, v0, v7, v6 op_sel:[1,0,0]
	v_pk_mul_f16 v9, v0, v7 op_sel_hi:[0,1]
	v_pk_fma_f16 v10, v0, v7, v6 op_sel:[1,0,0] neg_lo:[1,0,0] neg_hi:[1,0,0]
	v_pk_fma_f16 v0, v0, v7, v6 op_sel:[1,0,0] neg_lo:[0,0,1] neg_hi:[0,0,1]
	v_pk_add_f16 v6, v8, v9 op_sel:[0,1] op_sel_hi:[1,0]
	v_pk_add_f16 v7, v8, v9 op_sel:[0,1] op_sel_hi:[1,0] neg_lo:[0,1] neg_hi:[0,1]
	v_pk_add_f16 v8, v10, v9 op_sel:[0,1] op_sel_hi:[1,0] neg_lo:[0,1] neg_hi:[0,1]
	;; [unrolled: 1-line block ×3, first 2 shown]
	v_bfi_b32 v6, s6, v6, v7
	v_bfi_b32 v0, s6, v8, v0
	ds_write_b32 v15, v6
	ds_write_b32 v19, v0 offset:4368
.LBB0_29:
	s_or_b64 exec, exec, s[2:3]
	s_waitcnt lgkmcnt(0)
	s_barrier
	s_and_saveexec_b64 s[2:3], s[0:1]
	s_cbranch_execz .LBB0_32
; %bb.30:
	v_mul_lo_u32 v0, s5, v3
	v_mul_lo_u32 v6, s4, v4
	v_mad_u64_u32 v[3:4], s[0:1], s4, v3, 0
	v_lshlrev_b64 v[1:2], 2, v[1:2]
	v_lshl_add_u32 v9, v5, 2, 0
	v_add3_u32 v4, v4, v6, v0
	v_lshlrev_b64 v[3:4], 2, v[3:4]
	v_mov_b32_e32 v0, s11
	v_add_co_u32_e32 v3, vcc, s10, v3
	v_addc_co_u32_e32 v0, vcc, v0, v4, vcc
	v_mov_b32_e32 v6, 0
	ds_read2_b32 v[7:8], v9 offset1:182
	v_add_co_u32_e32 v1, vcc, v3, v1
	v_addc_co_u32_e32 v0, vcc, v0, v2, vcc
	v_lshlrev_b64 v[2:3], 2, v[5:6]
	v_add_u32_e32 v4, 0x500, v9
	v_add_co_u32_e32 v2, vcc, v1, v2
	v_addc_co_u32_e32 v3, vcc, v0, v3, vcc
	s_waitcnt lgkmcnt(0)
	global_store_dword v[2:3], v7, off
	v_add_u32_e32 v2, 0xb6, v5
	v_mov_b32_e32 v3, v6
	v_lshlrev_b64 v[2:3], 2, v[2:3]
	s_movk_i32 s0, 0xb5
	v_add_co_u32_e32 v2, vcc, v1, v2
	v_addc_co_u32_e32 v3, vcc, v0, v3, vcc
	global_store_dword v[2:3], v8, off
	v_add_u32_e32 v2, 0x16c, v5
	v_mov_b32_e32 v3, v6
	ds_read2_b32 v[7:8], v4 offset0:44 offset1:226
	v_lshlrev_b64 v[2:3], 2, v[2:3]
	v_add_u32_e32 v4, 0xb00, v9
	v_add_co_u32_e32 v2, vcc, v1, v2
	v_addc_co_u32_e32 v3, vcc, v0, v3, vcc
	s_waitcnt lgkmcnt(0)
	global_store_dword v[2:3], v7, off
	v_add_u32_e32 v2, 0x222, v5
	v_mov_b32_e32 v3, v6
	v_lshlrev_b64 v[2:3], 2, v[2:3]
	v_add_co_u32_e32 v2, vcc, v1, v2
	v_addc_co_u32_e32 v3, vcc, v0, v3, vcc
	global_store_dword v[2:3], v8, off
	v_add_u32_e32 v2, 0x2d8, v5
	v_mov_b32_e32 v3, v6
	ds_read2_b32 v[7:8], v4 offset0:24 offset1:206
	v_lshlrev_b64 v[2:3], 2, v[2:3]
	v_add_u32_e32 v4, 0x1000, v9
	v_add_co_u32_e32 v2, vcc, v1, v2
	v_addc_co_u32_e32 v3, vcc, v0, v3, vcc
	s_waitcnt lgkmcnt(0)
	global_store_dword v[2:3], v7, off
	v_add_u32_e32 v2, 0x38e, v5
	v_mov_b32_e32 v3, v6
	v_lshlrev_b64 v[2:3], 2, v[2:3]
	;; [unrolled: 15-line block ×3, first 2 shown]
	v_add_co_u32_e32 v2, vcc, v1, v2
	v_addc_co_u32_e32 v3, vcc, v0, v3, vcc
	global_store_dword v[2:3], v8, off
	v_add_u32_e32 v2, 0x5b0, v5
	v_mov_b32_e32 v3, v6
	ds_read2_b32 v[7:8], v4 offset0:48 offset1:230
	v_lshlrev_b64 v[2:3], 2, v[2:3]
	ds_read_b32 v4, v9 offset:7280
	v_add_co_u32_e32 v2, vcc, v1, v2
	v_addc_co_u32_e32 v3, vcc, v0, v3, vcc
	s_waitcnt lgkmcnt(1)
	global_store_dword v[2:3], v7, off
	v_add_u32_e32 v2, 0x666, v5
	v_mov_b32_e32 v3, v6
	v_lshlrev_b64 v[2:3], 2, v[2:3]
	v_add_co_u32_e32 v2, vcc, v1, v2
	v_addc_co_u32_e32 v3, vcc, v0, v3, vcc
	global_store_dword v[2:3], v8, off
	v_add_u32_e32 v2, 0x71c, v5
	v_mov_b32_e32 v3, v6
	v_lshlrev_b64 v[2:3], 2, v[2:3]
	v_add_co_u32_e32 v2, vcc, v1, v2
	v_addc_co_u32_e32 v3, vcc, v0, v3, vcc
	v_cmp_eq_u32_e32 vcc, s0, v5
	s_waitcnt lgkmcnt(0)
	global_store_dword v[2:3], v4, off
	s_and_b64 exec, exec, vcc
	s_cbranch_execz .LBB0_32
; %bb.31:
	ds_read_b32 v3, v6 offset:8008
	v_add_co_u32_e32 v1, vcc, 0x1000, v1
	v_addc_co_u32_e32 v2, vcc, 0, v0, vcc
	s_waitcnt lgkmcnt(0)
	global_store_dword v[1:2], v3, off offset:3912
.LBB0_32:
	s_endpgm
	.section	.rodata,"a",@progbits
	.p2align	6, 0x0
	.amdhsa_kernel fft_rtc_back_len2002_factors_2_13_7_11_wgs_182_tpt_182_halfLds_half_op_CI_CI_unitstride_sbrr_R2C_dirReg
		.amdhsa_group_segment_fixed_size 0
		.amdhsa_private_segment_fixed_size 0
		.amdhsa_kernarg_size 104
		.amdhsa_user_sgpr_count 6
		.amdhsa_user_sgpr_private_segment_buffer 1
		.amdhsa_user_sgpr_dispatch_ptr 0
		.amdhsa_user_sgpr_queue_ptr 0
		.amdhsa_user_sgpr_kernarg_segment_ptr 1
		.amdhsa_user_sgpr_dispatch_id 0
		.amdhsa_user_sgpr_flat_scratch_init 0
		.amdhsa_user_sgpr_private_segment_size 0
		.amdhsa_uses_dynamic_stack 0
		.amdhsa_system_sgpr_private_segment_wavefront_offset 0
		.amdhsa_system_sgpr_workgroup_id_x 1
		.amdhsa_system_sgpr_workgroup_id_y 0
		.amdhsa_system_sgpr_workgroup_id_z 0
		.amdhsa_system_sgpr_workgroup_info 0
		.amdhsa_system_vgpr_workitem_id 0
		.amdhsa_next_free_vgpr 194
		.amdhsa_next_free_sgpr 28
		.amdhsa_reserve_vcc 1
		.amdhsa_reserve_flat_scratch 0
		.amdhsa_float_round_mode_32 0
		.amdhsa_float_round_mode_16_64 0
		.amdhsa_float_denorm_mode_32 3
		.amdhsa_float_denorm_mode_16_64 3
		.amdhsa_dx10_clamp 1
		.amdhsa_ieee_mode 1
		.amdhsa_fp16_overflow 0
		.amdhsa_exception_fp_ieee_invalid_op 0
		.amdhsa_exception_fp_denorm_src 0
		.amdhsa_exception_fp_ieee_div_zero 0
		.amdhsa_exception_fp_ieee_overflow 0
		.amdhsa_exception_fp_ieee_underflow 0
		.amdhsa_exception_fp_ieee_inexact 0
		.amdhsa_exception_int_div_zero 0
	.end_amdhsa_kernel
	.text
.Lfunc_end0:
	.size	fft_rtc_back_len2002_factors_2_13_7_11_wgs_182_tpt_182_halfLds_half_op_CI_CI_unitstride_sbrr_R2C_dirReg, .Lfunc_end0-fft_rtc_back_len2002_factors_2_13_7_11_wgs_182_tpt_182_halfLds_half_op_CI_CI_unitstride_sbrr_R2C_dirReg
                                        ; -- End function
	.section	.AMDGPU.csdata,"",@progbits
; Kernel info:
; codeLenInByte = 12244
; NumSgprs: 32
; NumVgprs: 194
; ScratchSize: 0
; MemoryBound: 0
; FloatMode: 240
; IeeeMode: 1
; LDSByteSize: 0 bytes/workgroup (compile time only)
; SGPRBlocks: 3
; VGPRBlocks: 48
; NumSGPRsForWavesPerEU: 32
; NumVGPRsForWavesPerEU: 194
; Occupancy: 1
; WaveLimiterHint : 1
; COMPUTE_PGM_RSRC2:SCRATCH_EN: 0
; COMPUTE_PGM_RSRC2:USER_SGPR: 6
; COMPUTE_PGM_RSRC2:TRAP_HANDLER: 0
; COMPUTE_PGM_RSRC2:TGID_X_EN: 1
; COMPUTE_PGM_RSRC2:TGID_Y_EN: 0
; COMPUTE_PGM_RSRC2:TGID_Z_EN: 0
; COMPUTE_PGM_RSRC2:TIDIG_COMP_CNT: 0
	.type	__hip_cuid_624da2d9c0cef2f5,@object ; @__hip_cuid_624da2d9c0cef2f5
	.section	.bss,"aw",@nobits
	.globl	__hip_cuid_624da2d9c0cef2f5
__hip_cuid_624da2d9c0cef2f5:
	.byte	0                               ; 0x0
	.size	__hip_cuid_624da2d9c0cef2f5, 1

	.ident	"AMD clang version 19.0.0git (https://github.com/RadeonOpenCompute/llvm-project roc-6.4.0 25133 c7fe45cf4b819c5991fe208aaa96edf142730f1d)"
	.section	".note.GNU-stack","",@progbits
	.addrsig
	.addrsig_sym __hip_cuid_624da2d9c0cef2f5
	.amdgpu_metadata
---
amdhsa.kernels:
  - .args:
      - .actual_access:  read_only
        .address_space:  global
        .offset:         0
        .size:           8
        .value_kind:     global_buffer
      - .offset:         8
        .size:           8
        .value_kind:     by_value
      - .actual_access:  read_only
        .address_space:  global
        .offset:         16
        .size:           8
        .value_kind:     global_buffer
      - .actual_access:  read_only
        .address_space:  global
        .offset:         24
        .size:           8
        .value_kind:     global_buffer
      - .actual_access:  read_only
        .address_space:  global
        .offset:         32
        .size:           8
        .value_kind:     global_buffer
      - .offset:         40
        .size:           8
        .value_kind:     by_value
      - .actual_access:  read_only
        .address_space:  global
        .offset:         48
        .size:           8
        .value_kind:     global_buffer
      - .actual_access:  read_only
        .address_space:  global
        .offset:         56
        .size:           8
        .value_kind:     global_buffer
      - .offset:         64
        .size:           4
        .value_kind:     by_value
      - .actual_access:  read_only
        .address_space:  global
        .offset:         72
        .size:           8
        .value_kind:     global_buffer
      - .actual_access:  read_only
        .address_space:  global
        .offset:         80
        .size:           8
        .value_kind:     global_buffer
      - .actual_access:  read_only
        .address_space:  global
        .offset:         88
        .size:           8
        .value_kind:     global_buffer
      - .actual_access:  write_only
        .address_space:  global
        .offset:         96
        .size:           8
        .value_kind:     global_buffer
    .group_segment_fixed_size: 0
    .kernarg_segment_align: 8
    .kernarg_segment_size: 104
    .language:       OpenCL C
    .language_version:
      - 2
      - 0
    .max_flat_workgroup_size: 182
    .name:           fft_rtc_back_len2002_factors_2_13_7_11_wgs_182_tpt_182_halfLds_half_op_CI_CI_unitstride_sbrr_R2C_dirReg
    .private_segment_fixed_size: 0
    .sgpr_count:     32
    .sgpr_spill_count: 0
    .symbol:         fft_rtc_back_len2002_factors_2_13_7_11_wgs_182_tpt_182_halfLds_half_op_CI_CI_unitstride_sbrr_R2C_dirReg.kd
    .uniform_work_group_size: 1
    .uses_dynamic_stack: false
    .vgpr_count:     194
    .vgpr_spill_count: 0
    .wavefront_size: 64
amdhsa.target:   amdgcn-amd-amdhsa--gfx906
amdhsa.version:
  - 1
  - 2
...

	.end_amdgpu_metadata
